;; amdgpu-corpus repo=ROCm/rocFFT kind=compiled arch=gfx906 opt=O3
	.text
	.amdgcn_target "amdgcn-amd-amdhsa--gfx906"
	.amdhsa_code_object_version 6
	.protected	bluestein_single_fwd_len385_dim1_dp_op_CI_CI ; -- Begin function bluestein_single_fwd_len385_dim1_dp_op_CI_CI
	.globl	bluestein_single_fwd_len385_dim1_dp_op_CI_CI
	.p2align	8
	.type	bluestein_single_fwd_len385_dim1_dp_op_CI_CI,@function
bluestein_single_fwd_len385_dim1_dp_op_CI_CI: ; @bluestein_single_fwd_len385_dim1_dp_op_CI_CI
; %bb.0:
	s_mov_b64 s[46:47], s[2:3]
	s_mov_b64 s[44:45], s[0:1]
	s_load_dwordx4 s[0:3], s[4:5], 0x28
	v_mul_u32_u24_e32 v1, 0x4a8, v0
	v_add_u32_sdwa v214, s6, v1 dst_sel:DWORD dst_unused:UNUSED_PAD src0_sel:DWORD src1_sel:WORD_1
	v_mov_b32_e32 v215, 0
	s_add_u32 s44, s44, s7
	s_waitcnt lgkmcnt(0)
	v_cmp_gt_u64_e32 vcc, s[0:1], v[214:215]
	s_addc_u32 s45, s45, 0
	s_and_saveexec_b64 s[0:1], vcc
	s_cbranch_execz .LBB0_23
; %bb.1:
	s_load_dwordx2 s[12:13], s[4:5], 0x0
	s_load_dwordx2 s[6:7], s[4:5], 0x38
	v_mov_b32_e32 v2, 55
	v_mul_lo_u16_sdwa v1, v1, v2 dst_sel:DWORD dst_unused:UNUSED_PAD src0_sel:WORD_1 src1_sel:DWORD
	v_sub_u16_e32 v112, v0, v1
	v_cmp_gt_u16_e64 s[0:1], 35, v112
	v_lshlrev_b32_e32 v213, 4, v112
	s_and_saveexec_b64 s[14:15], s[0:1]
	s_cbranch_execz .LBB0_3
; %bb.2:
	s_load_dwordx2 s[8:9], s[4:5], 0x18
	s_waitcnt lgkmcnt(0)
	v_mov_b32_e32 v40, s13
	s_load_dwordx4 s[8:11], s[8:9], 0x0
	s_waitcnt lgkmcnt(0)
	v_mad_u64_u32 v[0:1], s[16:17], s10, v214, 0
	v_mad_u64_u32 v[2:3], s[16:17], s8, v112, 0
	;; [unrolled: 1-line block ×4, first 2 shown]
	v_mov_b32_e32 v1, v4
	v_lshlrev_b64 v[0:1], 4, v[0:1]
	v_mov_b32_e32 v3, v5
	v_mov_b32_e32 v6, s3
	v_lshlrev_b64 v[2:3], 4, v[2:3]
	v_add_co_u32_e32 v0, vcc, s2, v0
	v_addc_co_u32_e32 v1, vcc, v6, v1, vcc
	v_add_co_u32_e32 v16, vcc, v0, v2
	s_mul_i32 s2, s9, 0x230
	s_mul_hi_u32 s3, s8, 0x230
	v_addc_co_u32_e32 v17, vcc, v1, v3, vcc
	s_add_i32 s2, s3, s2
	s_mul_i32 s3, s8, 0x230
	v_mov_b32_e32 v0, s2
	v_add_co_u32_e32 v18, vcc, s3, v16
	v_addc_co_u32_e32 v19, vcc, v17, v0, vcc
	global_load_dwordx4 v[0:3], v[16:17], off
	global_load_dwordx4 v[4:7], v[18:19], off
	global_load_dwordx4 v[8:11], v213, s[12:13]
	global_load_dwordx4 v[12:15], v213, s[12:13] offset:560
	v_mov_b32_e32 v16, s2
	v_add_co_u32_e32 v48, vcc, s3, v18
	v_addc_co_u32_e32 v49, vcc, v19, v16, vcc
	v_add_co_u32_e32 v41, vcc, s12, v213
	s_movk_i32 s8, 0x1000
	v_addc_co_u32_e32 v40, vcc, 0, v40, vcc
	v_add_co_u32_e32 v88, vcc, s8, v41
	v_addc_co_u32_e32 v89, vcc, 0, v40, vcc
	v_mov_b32_e32 v40, s2
	v_add_co_u32_e32 v50, vcc, s3, v48
	global_load_dwordx4 v[16:19], v213, s[12:13] offset:1120
	global_load_dwordx4 v[20:23], v213, s[12:13] offset:1680
	;; [unrolled: 1-line block ×6, first 2 shown]
	v_addc_co_u32_e32 v51, vcc, v49, v40, vcc
	global_load_dwordx4 v[40:43], v[48:49], off
	global_load_dwordx4 v[44:47], v[50:51], off
	v_mov_b32_e32 v53, s2
	v_add_co_u32_e32 v52, vcc, s3, v50
	v_addc_co_u32_e32 v53, vcc, v51, v53, vcc
	v_mov_b32_e32 v54, s2
	v_add_co_u32_e32 v56, vcc, s3, v52
	v_addc_co_u32_e32 v57, vcc, v53, v54, vcc
	v_mov_b32_e32 v58, s2
	v_add_co_u32_e32 v60, vcc, s3, v56
	v_addc_co_u32_e32 v61, vcc, v57, v58, vcc
	global_load_dwordx4 v[48:51], v[52:53], off
	v_mov_b32_e32 v62, s2
	global_load_dwordx4 v[52:55], v[56:57], off
	v_add_co_u32_e32 v64, vcc, s3, v60
	global_load_dwordx4 v[56:59], v[60:61], off
	v_addc_co_u32_e32 v65, vcc, v61, v62, vcc
	v_mov_b32_e32 v66, s2
	v_add_co_u32_e32 v68, vcc, s3, v64
	v_addc_co_u32_e32 v69, vcc, v65, v66, vcc
	v_mov_b32_e32 v70, s2
	v_add_co_u32_e32 v80, vcc, s3, v68
	global_load_dwordx4 v[60:63], v[64:65], off
	v_addc_co_u32_e32 v81, vcc, v69, v70, vcc
	global_load_dwordx4 v[64:67], v[68:69], off
	v_mov_b32_e32 v82, s2
	v_add_co_u32_e32 v90, vcc, s3, v80
	global_load_dwordx4 v[68:71], v[80:81], off
	global_load_dwordx4 v[72:75], v[88:89], off offset:384
	global_load_dwordx4 v[76:79], v[88:89], off offset:944
	v_addc_co_u32_e32 v91, vcc, v81, v82, vcc
	global_load_dwordx4 v[80:83], v[90:91], off
	global_load_dwordx4 v[84:87], v[88:89], off offset:1504
	s_waitcnt vmcnt(19)
	v_mul_f64 v[88:89], v[2:3], v[10:11]
	v_mul_f64 v[10:11], v[0:1], v[10:11]
	s_waitcnt vmcnt(18)
	v_mul_f64 v[90:91], v[6:7], v[14:15]
	v_mul_f64 v[14:15], v[4:5], v[14:15]
	v_fma_f64 v[0:1], v[0:1], v[8:9], v[88:89]
	v_fma_f64 v[2:3], v[2:3], v[8:9], -v[10:11]
	v_fma_f64 v[4:5], v[4:5], v[12:13], v[90:91]
	v_fma_f64 v[6:7], v[6:7], v[12:13], -v[14:15]
	ds_write_b128 v213, v[0:3]
	ds_write_b128 v213, v[4:7] offset:560
	s_waitcnt vmcnt(11)
	v_mul_f64 v[88:89], v[42:43], v[18:19]
	v_mul_f64 v[18:19], v[40:41], v[18:19]
	s_waitcnt vmcnt(10)
	v_mul_f64 v[12:13], v[46:47], v[22:23]
	v_mul_f64 v[2:3], v[44:45], v[22:23]
	v_fma_f64 v[8:9], v[40:41], v[16:17], v[88:89]
	v_fma_f64 v[10:11], v[42:43], v[16:17], -v[18:19]
	v_fma_f64 v[0:1], v[44:45], v[20:21], v[12:13]
	v_fma_f64 v[2:3], v[46:47], v[20:21], -v[2:3]
	s_waitcnt vmcnt(9)
	v_mul_f64 v[4:5], v[50:51], v[26:27]
	v_mul_f64 v[6:7], v[48:49], v[26:27]
	s_waitcnt vmcnt(8)
	v_mul_f64 v[12:13], v[54:55], v[30:31]
	v_mul_f64 v[14:15], v[52:53], v[30:31]
	ds_write_b128 v213, v[8:11] offset:1120
	s_waitcnt vmcnt(7)
	v_mul_f64 v[16:17], v[58:59], v[34:35]
	v_mul_f64 v[18:19], v[56:57], v[34:35]
	v_fma_f64 v[4:5], v[48:49], v[24:25], v[4:5]
	v_fma_f64 v[6:7], v[50:51], v[24:25], -v[6:7]
	v_fma_f64 v[8:9], v[52:53], v[28:29], v[12:13]
	v_fma_f64 v[10:11], v[54:55], v[28:29], -v[14:15]
	;; [unrolled: 2-line block ×3, first 2 shown]
	s_waitcnt vmcnt(6)
	v_mul_f64 v[16:17], v[62:63], v[38:39]
	v_mul_f64 v[18:19], v[60:61], v[38:39]
	s_waitcnt vmcnt(3)
	v_mul_f64 v[20:21], v[66:67], v[74:75]
	v_mul_f64 v[22:23], v[64:65], v[74:75]
	;; [unrolled: 3-line block ×4, first 2 shown]
	v_fma_f64 v[16:17], v[60:61], v[36:37], v[16:17]
	v_fma_f64 v[18:19], v[62:63], v[36:37], -v[18:19]
	v_fma_f64 v[20:21], v[64:65], v[72:73], v[20:21]
	v_fma_f64 v[22:23], v[66:67], v[72:73], -v[22:23]
	;; [unrolled: 2-line block ×4, first 2 shown]
	ds_write_b128 v213, v[0:3] offset:1680
	ds_write_b128 v213, v[4:7] offset:2240
	;; [unrolled: 1-line block ×8, first 2 shown]
.LBB0_3:
	s_or_b64 exec, exec, s[14:15]
	s_load_dwordx2 s[2:3], s[4:5], 0x20
	s_load_dwordx2 s[14:15], s[4:5], 0x8
	s_waitcnt lgkmcnt(0)
	; wave barrier
	s_waitcnt lgkmcnt(0)
                                        ; implicit-def: $vgpr4_vgpr5
                                        ; implicit-def: $vgpr8_vgpr9
                                        ; implicit-def: $vgpr12_vgpr13
                                        ; implicit-def: $vgpr16_vgpr17
                                        ; implicit-def: $vgpr20_vgpr21
                                        ; implicit-def: $vgpr24_vgpr25
                                        ; implicit-def: $vgpr28_vgpr29
                                        ; implicit-def: $vgpr32_vgpr33
                                        ; implicit-def: $vgpr36_vgpr37
                                        ; implicit-def: $vgpr40_vgpr41
                                        ; implicit-def: $vgpr44_vgpr45
	s_and_saveexec_b64 s[4:5], s[0:1]
	s_cbranch_execz .LBB0_5
; %bb.4:
	ds_read_b128 v[4:7], v213
	ds_read_b128 v[8:11], v213 offset:560
	ds_read_b128 v[12:15], v213 offset:1120
	;; [unrolled: 1-line block ×10, first 2 shown]
.LBB0_5:
	s_or_b64 exec, exec, s[4:5]
	s_waitcnt lgkmcnt(0)
	v_add_f64 v[84:85], v[10:11], -v[46:47]
	s_mov_b32 s8, 0xf8bb580b
	s_mov_b32 s9, 0xbfe14ced
	v_add_f64 v[76:77], v[8:9], v[44:45]
	v_add_f64 v[110:111], v[14:15], -v[42:43]
	s_mov_b32 s10, 0x8764f0ba
	s_mov_b32 s18, 0x8eee2c13
	;; [unrolled: 1-line block ×3, first 2 shown]
	v_mul_f64 v[48:49], v[84:85], s[8:9]
	s_mov_b32 s19, 0xbfed1bb4
	v_add_f64 v[78:79], v[8:9], -v[44:45]
	v_add_f64 v[92:93], v[12:13], v[40:41]
	v_mul_f64 v[50:51], v[110:111], s[18:19]
	v_add_f64 v[131:132], v[18:19], -v[38:39]
	s_mov_b32 s4, 0xd9c712b6
	s_mov_b32 s16, 0x43842ef
	v_fma_f64 v[0:1], v[76:77], s[10:11], v[48:49]
	s_mov_b32 s5, 0x3fda9628
	s_mov_b32 s17, 0xbfefac9e
	v_add_f64 v[96:97], v[10:11], v[46:47]
	v_add_f64 v[98:99], v[12:13], -v[40:41]
	v_fma_f64 v[60:61], v[92:93], s[4:5], v[50:51]
	v_add_f64 v[100:101], v[16:17], v[36:37]
	v_mul_f64 v[56:57], v[131:132], s[16:17]
	v_add_f64 v[0:1], v[4:5], v[0:1]
	v_add_f64 v[125:126], v[22:23], -v[34:35]
	v_mul_f64 v[82:83], v[84:85], s[18:19]
	v_mul_f64 v[123:124], v[78:79], s[18:19]
	s_mov_b32 s20, 0x640f44db
	s_mov_b32 s26, 0xbb3a28a1
	;; [unrolled: 1-line block ×4, first 2 shown]
	v_add_f64 v[127:128], v[14:15], v[42:43]
	v_add_f64 v[0:1], v[60:61], v[0:1]
	v_fma_f64 v[60:61], v[100:101], s[20:21], v[56:57]
	v_add_f64 v[113:114], v[20:21], v[32:33]
	v_mul_f64 v[72:73], v[125:126], s[26:27]
	v_fma_f64 v[64:65], v[76:77], s[4:5], v[82:83]
	v_mul_f64 v[88:89], v[110:111], s[26:27]
	v_fma_f64 v[66:67], v[96:97], s[4:5], -v[123:124]
	v_mul_f64 v[102:103], v[98:99], s[26:27]
	s_mov_b32 s24, 0x7f775887
	s_mov_b32 s38, 0xfd768dbf
	;; [unrolled: 1-line block ×4, first 2 shown]
	v_add_f64 v[0:1], v[60:61], v[0:1]
	v_fma_f64 v[60:61], v[113:114], s[24:25], v[72:73]
	v_add_f64 v[64:65], v[4:5], v[64:65]
	v_fma_f64 v[68:69], v[92:93], s[24:25], v[88:89]
	v_add_f64 v[66:67], v[6:7], v[66:67]
	v_fma_f64 v[70:71], v[127:128], s[24:25], -v[102:103]
	v_mul_f64 v[90:91], v[131:132], s[38:39]
	s_mov_b32 s28, 0x9bcd5057
	s_mov_b32 s29, 0xbfeeb42a
	;; [unrolled: 1-line block ×4, first 2 shown]
	v_add_f64 v[0:1], v[60:61], v[0:1]
	v_add_f64 v[60:61], v[68:69], v[64:65]
	v_add_f64 v[64:65], v[70:71], v[66:67]
	v_fma_f64 v[66:67], v[100:101], s[28:29], v[90:91]
	v_mul_f64 v[94:95], v[125:126], s[30:31]
	v_mul_f64 v[119:120], v[84:85], s[16:17]
	;; [unrolled: 1-line block ×4, first 2 shown]
	v_add_f64 v[121:122], v[16:17], -v[36:37]
	v_mul_f64 v[129:130], v[110:111], s[38:39]
	v_mul_f64 v[159:160], v[98:99], s[38:39]
	v_add_f64 v[60:61], v[66:67], v[60:61]
	v_fma_f64 v[66:67], v[113:114], s[20:21], v[94:95]
	v_fma_f64 v[133:134], v[76:77], s[20:21], v[119:120]
	v_mul_f64 v[161:162], v[84:85], s[26:27]
	v_mul_f64 v[171:172], v[78:79], s[26:27]
	s_mov_b32 s37, 0x3fed1bb4
	s_mov_b32 s36, s18
	v_mul_f64 v[52:53], v[98:99], s[18:19]
	v_fma_f64 v[2:3], v[96:97], s[10:11], -v[54:55]
	v_add_f64 v[60:61], v[66:67], v[60:61]
	v_fma_f64 v[66:67], v[96:97], s[20:21], -v[157:158]
	v_add_f64 v[137:138], v[18:19], v[38:39]
	v_add_f64 v[139:140], v[4:5], v[133:134]
	v_fma_f64 v[147:148], v[92:93], s[28:29], v[129:130]
	v_fma_f64 v[149:150], v[127:128], s[28:29], -v[159:160]
	v_mul_f64 v[133:134], v[131:132], s[36:37]
	v_mul_f64 v[145:146], v[121:122], s[36:37]
	v_fma_f64 v[153:154], v[76:77], s[24:25], v[161:162]
	v_add_f64 v[66:67], v[6:7], v[66:67]
	v_mul_f64 v[163:164], v[110:111], s[30:31]
	v_fma_f64 v[165:166], v[96:97], s[24:25], -v[171:172]
	v_mul_f64 v[173:174], v[98:99], s[30:31]
	v_fma_f64 v[62:63], v[127:128], s[4:5], -v[52:53]
	v_add_f64 v[2:3], v[6:7], v[2:3]
	v_mul_f64 v[58:59], v[121:122], s[16:17]
	v_add_f64 v[117:118], v[20:21], -v[32:33]
	v_mul_f64 v[106:107], v[121:122], s[38:39]
	v_add_f64 v[139:140], v[147:148], v[139:140]
	v_add_f64 v[66:67], v[149:150], v[66:67]
	v_fma_f64 v[147:148], v[100:101], s[4:5], v[133:134]
	v_fma_f64 v[149:150], v[137:138], s[4:5], -v[145:146]
	v_add_f64 v[153:154], v[4:5], v[153:154]
	v_fma_f64 v[169:170], v[92:93], s[20:21], v[163:164]
	v_add_f64 v[165:166], v[6:7], v[165:166]
	v_fma_f64 v[175:176], v[127:128], s[20:21], -v[173:174]
	v_mul_f64 v[167:168], v[131:132], s[8:9]
	v_mul_f64 v[177:178], v[121:122], s[8:9]
	s_mov_b32 s35, 0xbfd207e7
	s_mov_b32 s34, s38
	v_add_f64 v[2:3], v[62:63], v[2:3]
	v_fma_f64 v[62:63], v[137:138], s[20:21], -v[58:59]
	v_add_f64 v[143:144], v[22:23], v[34:35]
	v_mul_f64 v[74:75], v[117:118], s[26:27]
	v_add_f64 v[151:152], v[26:27], -v[30:31]
	v_add_f64 v[141:142], v[24:25], -v[28:29]
	v_fma_f64 v[68:69], v[137:138], s[28:29], -v[106:107]
	v_mul_f64 v[108:109], v[117:118], s[30:31]
	v_add_f64 v[183:184], v[147:148], v[139:140]
	v_add_f64 v[66:67], v[149:150], v[66:67]
	v_mul_f64 v[139:140], v[125:126], s[8:9]
	v_mul_f64 v[149:150], v[117:118], s[8:9]
	v_add_f64 v[169:170], v[169:170], v[153:154]
	v_add_f64 v[179:180], v[175:176], v[165:166]
	v_fma_f64 v[185:186], v[100:101], s[10:11], v[167:168]
	v_fma_f64 v[187:188], v[137:138], s[10:11], -v[177:178]
	v_mul_f64 v[165:166], v[125:126], s[34:35]
	v_mul_f64 v[175:176], v[117:118], s[34:35]
	s_mov_b32 s41, 0x3fe14ced
	s_mov_b32 s40, s8
	v_add_f64 v[2:3], v[62:63], v[2:3]
	v_fma_f64 v[62:63], v[143:144], s[24:25], -v[74:75]
	v_add_f64 v[135:136], v[24:25], v[28:29]
	v_mul_f64 v[80:81], v[151:152], s[34:35]
	v_add_f64 v[155:156], v[26:27], v[30:31]
	v_mul_f64 v[86:87], v[141:142], s[34:35]
	v_add_f64 v[64:65], v[68:69], v[64:65]
	v_fma_f64 v[68:69], v[143:144], s[20:21], -v[108:109]
	v_mul_f64 v[104:105], v[151:152], s[40:41]
	v_mul_f64 v[115:116], v[141:142], s[40:41]
	v_fma_f64 v[189:190], v[113:114], s[10:11], v[139:140]
	v_fma_f64 v[191:192], v[143:144], s[10:11], -v[149:150]
	v_mul_f64 v[147:148], v[151:152], s[26:27]
	v_mul_f64 v[153:154], v[141:142], s[26:27]
	v_add_f64 v[185:186], v[185:186], v[169:170]
	v_add_f64 v[187:188], v[187:188], v[179:180]
	v_fma_f64 v[193:194], v[113:114], s[28:29], v[165:166]
	v_fma_f64 v[195:196], v[143:144], s[28:29], -v[175:176]
	v_mul_f64 v[169:170], v[151:152], s[36:37]
	v_mul_f64 v[179:180], v[141:142], s[36:37]
	v_add_f64 v[2:3], v[62:63], v[2:3]
	v_fma_f64 v[62:63], v[135:136], s[28:29], v[80:81]
	v_fma_f64 v[70:71], v[155:156], s[28:29], -v[86:87]
	v_add_f64 v[64:65], v[68:69], v[64:65]
	v_fma_f64 v[68:69], v[135:136], s[10:11], v[104:105]
	v_fma_f64 v[181:182], v[155:156], s[10:11], -v[115:116]
	v_add_f64 v[183:184], v[189:190], v[183:184]
	v_add_f64 v[66:67], v[191:192], v[66:67]
	v_fma_f64 v[189:190], v[135:136], s[24:25], v[147:148]
	v_fma_f64 v[191:192], v[155:156], s[24:25], -v[153:154]
	v_add_f64 v[185:186], v[193:194], v[185:186]
	;; [unrolled: 4-line block ×3, first 2 shown]
	v_add_f64 v[2:3], v[70:71], v[2:3]
	v_add_f64 v[68:69], v[68:69], v[60:61]
	v_add_f64 v[70:71], v[181:182], v[64:65]
	v_add_f64 v[64:65], v[189:190], v[183:184]
	v_add_f64 v[66:67], v[191:192], v[66:67]
	v_add_f64 v[60:61], v[193:194], v[185:186]
	v_add_f64 v[62:63], v[195:196], v[187:188]
	v_mul_lo_u16_e32 v215, 11, v112
	s_waitcnt lgkmcnt(0)
	; wave barrier
	s_and_saveexec_b64 s[22:23], s[0:1]
	s_cbranch_execz .LBB0_7
; %bb.6:
	v_mul_f64 v[183:184], v[96:97], s[10:11]
	v_mul_f64 v[187:188], v[96:97], s[4:5]
	;; [unrolled: 1-line block ×12, first 2 shown]
	v_fma_f64 v[228:229], v[78:79], s[38:39], v[96:97]
	v_mul_f64 v[222:223], v[137:138], s[28:29]
	v_mul_f64 v[226:227], v[137:138], s[4:5]
	;; [unrolled: 1-line block ×4, first 2 shown]
	v_fma_f64 v[238:239], v[98:99], s[8:9], v[127:128]
	v_mul_f64 v[110:111], v[110:111], s[40:41]
	v_fma_f64 v[242:243], v[76:77], s[28:29], v[84:85]
	v_add_f64 v[228:229], v[6:7], v[228:229]
	s_mov_b32 s9, 0x3fe82f19
	s_mov_b32 s8, s26
	v_mul_f64 v[131:132], v[131:132], s[26:27]
	v_fma_f64 v[246:247], v[121:122], s[8:9], v[137:138]
	v_mul_f64 v[244:245], v[143:144], s[4:5]
	v_fma_f64 v[78:79], v[78:79], s[34:35], v[96:97]
	v_add_f64 v[242:243], v[4:5], v[242:243]
	v_add_f64 v[228:229], v[238:239], v[228:229]
	v_fma_f64 v[238:239], v[92:93], s[10:11], v[110:111]
	v_add_f64 v[171:172], v[171:172], v[195:196]
	v_add_f64 v[10:11], v[6:7], v[10:11]
	;; [unrolled: 1-line block ×3, first 2 shown]
	v_fma_f64 v[96:97], v[117:118], s[18:19], v[244:245]
	v_mul_f64 v[193:194], v[76:77], s[24:25]
	v_fma_f64 v[98:99], v[98:99], s[40:41], v[127:128]
	v_add_f64 v[228:229], v[246:247], v[228:229]
	v_fma_f64 v[246:247], v[100:101], s[24:25], v[131:132]
	v_add_f64 v[238:239], v[238:239], v[242:243]
	v_add_f64 v[78:79], v[6:7], v[78:79]
	v_fma_f64 v[84:85], v[76:77], s[28:29], -v[84:85]
	v_add_f64 v[173:174], v[173:174], v[211:212]
	v_add_f64 v[171:172], v[6:7], v[171:172]
	v_add_f64 v[10:11], v[10:11], v[14:15]
	v_add_f64 v[96:97], v[96:97], v[228:229]
	v_add_f64 v[8:9], v[8:9], v[12:13]
	v_add_f64 v[238:239], v[246:247], v[238:239]
	v_mul_f64 v[246:247], v[155:156], s[20:21]
	v_mul_f64 v[181:182], v[76:77], s[10:11]
	;; [unrolled: 1-line block ×8, first 2 shown]
	v_fma_f64 v[195:196], v[141:142], s[30:31], v[246:247]
	v_mul_f64 v[236:237], v[143:144], s[24:25]
	v_mul_f64 v[248:249], v[143:144], s[20:21]
	;; [unrolled: 1-line block ×4, first 2 shown]
	v_fma_f64 v[121:122], v[121:122], s[26:27], v[137:138]
	v_add_f64 v[78:79], v[98:99], v[78:79]
	v_fma_f64 v[92:93], v[92:93], s[10:11], -v[110:111]
	v_add_f64 v[76:77], v[195:196], v[96:97]
	v_add_f64 v[84:85], v[4:5], v[84:85]
	;; [unrolled: 1-line block ×3, first 2 shown]
	v_add_f64 v[161:162], v[193:194], -v[161:162]
	v_add_f64 v[171:172], v[173:174], v[171:172]
	v_add_f64 v[10:11], v[10:11], v[18:19]
	v_add_f64 v[8:9], v[8:9], v[16:17]
	v_mul_f64 v[216:217], v[100:101], s[20:21]
	v_mul_f64 v[220:221], v[100:101], s[28:29]
	;; [unrolled: 1-line block ×9, first 2 shown]
	v_fma_f64 v[117:118], v[117:118], s[36:37], v[244:245]
	v_add_f64 v[78:79], v[121:122], v[78:79]
	v_fma_f64 v[100:101], v[100:101], s[24:25], -v[131:132]
	v_add_f64 v[84:85], v[92:93], v[84:85]
	v_add_f64 v[92:93], v[175:176], v[143:144]
	v_add_f64 v[121:122], v[209:210], -v[163:164]
	v_add_f64 v[131:132], v[4:5], v[161:162]
	v_add_f64 v[96:97], v[96:97], v[171:172]
	;; [unrolled: 1-line block ×4, first 2 shown]
	v_mul_f64 v[234:235], v[113:114], s[24:25]
	v_mul_f64 v[240:241], v[113:114], s[20:21]
	;; [unrolled: 1-line block ×4, first 2 shown]
	v_fma_f64 v[193:194], v[113:114], s[4:5], v[125:126]
	v_add_f64 v[78:79], v[117:118], v[78:79]
	v_fma_f64 v[113:114], v[113:114], s[4:5], -v[125:126]
	v_add_f64 v[100:101], v[100:101], v[84:85]
	v_add_f64 v[117:118], v[179:180], v[155:156]
	v_add_f64 v[125:126], v[230:231], -v[167:168]
	v_add_f64 v[121:122], v[121:122], v[131:132]
	v_add_f64 v[92:93], v[92:93], v[96:97]
	;; [unrolled: 1-line block ×7, first 2 shown]
	v_add_f64 v[24:25], v[181:182], -v[48:49]
	v_add_f64 v[119:120], v[189:190], -v[119:120]
	;; [unrolled: 1-line block ×3, first 2 shown]
	v_add_f64 v[100:101], v[113:114], v[100:101]
	v_add_f64 v[113:114], v[242:243], -v[165:166]
	v_add_f64 v[121:122], v[125:126], v[121:122]
	v_add_f64 v[92:93], v[117:118], v[92:93]
	v_add_f64 v[117:118], v[159:160], v[207:208]
	v_add_f64 v[125:126], v[6:7], v[131:132]
	v_add_f64 v[102:103], v[102:103], v[203:204]
	v_add_f64 v[123:124], v[6:7], v[123:124]
	v_add_f64 v[10:11], v[10:11], v[30:31]
	v_add_f64 v[8:9], v[8:9], v[28:29]
	v_add_f64 v[52:53], v[52:53], v[199:200]
	v_add_f64 v[6:7], v[6:7], v[54:55]
	v_add_f64 v[50:51], v[197:198], -v[50:51]
	v_add_f64 v[24:25], v[4:5], v[24:25]
	v_add_f64 v[119:120], v[4:5], v[119:120]
	v_add_f64 v[48:49], v[201:202], -v[88:89]
	v_add_f64 v[4:5], v[4:5], v[26:27]
	v_add_f64 v[14:15], v[205:206], -v[129:130]
	v_add_f64 v[113:114], v[113:114], v[121:122]
	v_add_f64 v[121:122], v[145:146], v[226:227]
	;; [unrolled: 1-line block ×9, first 2 shown]
	v_add_f64 v[30:31], v[216:217], -v[56:57]
	v_add_f64 v[24:25], v[50:51], v[24:25]
	v_add_f64 v[26:27], v[220:221], -v[90:91]
	v_add_f64 v[4:5], v[48:49], v[4:5]
	;; [unrolled: 2-line block ×3, first 2 shown]
	v_add_f64 v[12:13], v[149:150], v[252:253]
	v_add_f64 v[117:118], v[121:122], v[117:118]
	;; [unrolled: 1-line block ×6, first 2 shown]
	v_mul_f64 v[127:128], v[135:136], s[28:29]
	v_add_f64 v[34:35], v[74:75], v[236:237]
	v_add_f64 v[6:7], v[28:29], v[6:7]
	v_add_f64 v[28:29], v[234:235], -v[72:73]
	v_add_f64 v[24:25], v[30:31], v[24:25]
	v_mul_f64 v[137:138], v[135:136], s[10:11]
	v_add_f64 v[32:33], v[240:241], -v[94:95]
	v_add_f64 v[4:5], v[26:27], v[4:5]
	v_mul_f64 v[110:111], v[135:136], s[24:25]
	;; [unrolled: 3-line block ×3, first 2 shown]
	v_mul_f64 v[151:152], v[151:152], s[16:17]
	v_fma_f64 v[141:142], v[141:142], s[16:17], v[246:247]
	v_add_f64 v[16:17], v[153:154], v[254:255]
	v_add_f64 v[12:13], v[12:13], v[117:118]
	;; [unrolled: 1-line block ×8, first 2 shown]
	v_add_f64 v[36:37], v[127:128], -v[80:81]
	v_add_f64 v[24:25], v[28:29], v[24:25]
	v_add_f64 v[26:27], v[137:138], -v[104:105]
	v_add_f64 v[4:5], v[32:33], v[4:5]
	v_add_f64 v[20:21], v[110:111], -v[147:148]
	v_add_f64 v[22:23], v[22:23], v[14:15]
	v_add_f64 v[131:132], v[211:212], -v[169:170]
	v_add_f64 v[84:85], v[141:142], v[78:79]
	v_fma_f64 v[78:79], v[135:136], s[20:21], -v[151:152]
	v_fma_f64 v[177:178], v[135:136], s[20:21], v[151:152]
	v_add_f64 v[96:97], v[193:194], v[238:239]
	v_add_f64 v[6:7], v[16:17], v[12:13]
	;; [unrolled: 1-line block ×12, first 2 shown]
	v_lshlrev_b32_e32 v20, 4, v215
	ds_write_b128 v20, v[16:19]
	ds_write_b128 v20, v[12:15] offset:16
	ds_write_b128 v20, v[8:11] offset:32
	ds_write_b128 v20, v[4:7] offset:48
	ds_write_b128 v20, v[90:93] offset:64
	ds_write_b128 v20, v[82:85] offset:80
	ds_write_b128 v20, v[74:77] offset:96
	ds_write_b128 v20, v[60:63] offset:112
	ds_write_b128 v20, v[64:67] offset:128
	ds_write_b128 v20, v[68:71] offset:144
	ds_write_b128 v20, v[0:3] offset:160
.LBB0_7:
	s_or_b64 exec, exec, s[22:23]
	s_load_dwordx4 s[8:11], s[2:3], 0x0
	s_movk_i32 s2, 0x75
	v_mul_lo_u16_sdwa v4, v112, s2 dst_sel:DWORD dst_unused:UNUSED_PAD src0_sel:BYTE_0 src1_sel:DWORD
	v_sub_u16_sdwa v5, v112, v4 dst_sel:DWORD dst_unused:UNUSED_PAD src0_sel:DWORD src1_sel:BYTE_1
	v_lshrrev_b16_e32 v5, 1, v5
	v_and_b32_e32 v5, 0x7f, v5
	v_add_u16_sdwa v4, v5, v4 dst_sel:DWORD dst_unused:UNUSED_PAD src0_sel:DWORD src1_sel:BYTE_1
	v_lshrrev_b16_e32 v56, 3, v4
	v_mul_lo_u16_e32 v4, 11, v56
	v_sub_u16_e32 v4, v112, v4
	v_and_b32_e32 v92, 0xff, v4
	v_mul_u32_u24_e32 v4, 6, v92
	v_lshlrev_b32_e32 v12, 4, v4
	s_waitcnt lgkmcnt(0)
	; wave barrier
	s_waitcnt lgkmcnt(0)
	global_load_dwordx4 v[24:27], v12, s[14:15]
	global_load_dwordx4 v[16:19], v12, s[14:15] offset:16
	global_load_dwordx4 v[8:11], v12, s[14:15] offset:32
	;; [unrolled: 1-line block ×5, first 2 shown]
	ds_read_b128 v[12:15], v213
	ds_read_b128 v[20:23], v213 offset:880
	ds_read_b128 v[28:31], v213 offset:1760
	;; [unrolled: 1-line block ×6, first 2 shown]
	v_mul_u32_u24_e32 v93, 0x4d, v56
	s_mov_b32 s4, 0x37e14327
	s_mov_b32 s2, 0x36b3c0b5
	;; [unrolled: 1-line block ×16, first 2 shown]
	v_add_lshl_u32 v216, v93, v92, 4
	s_waitcnt lgkmcnt(0)
	; wave barrier
	s_waitcnt vmcnt(5) lgkmcnt(0)
	v_mul_f64 v[56:57], v[22:23], v[26:27]
	v_mul_f64 v[58:59], v[20:21], v[26:27]
	s_waitcnt vmcnt(4)
	v_mul_f64 v[72:73], v[30:31], v[18:19]
	v_mul_f64 v[74:75], v[28:29], v[18:19]
	s_waitcnt vmcnt(1)
	;; [unrolled: 3-line block ×3, first 2 shown]
	v_mul_f64 v[88:89], v[50:51], v[42:43]
	v_mul_f64 v[90:91], v[48:49], v[42:43]
	;; [unrolled: 1-line block ×6, first 2 shown]
	v_fma_f64 v[20:21], v[20:21], v[24:25], -v[56:57]
	v_fma_f64 v[22:23], v[22:23], v[24:25], v[58:59]
	v_fma_f64 v[28:29], v[28:29], v[16:17], -v[72:73]
	v_fma_f64 v[30:31], v[30:31], v[16:17], v[74:75]
	;; [unrolled: 2-line block ×6, first 2 shown]
	v_add_f64 v[56:57], v[20:21], v[52:53]
	v_add_f64 v[58:59], v[22:23], v[54:55]
	v_add_f64 v[20:21], v[20:21], -v[52:53]
	v_add_f64 v[22:23], v[22:23], -v[54:55]
	v_add_f64 v[52:53], v[28:29], v[48:49]
	v_add_f64 v[54:55], v[30:31], v[50:51]
	v_add_f64 v[28:29], v[28:29], -v[48:49]
	v_add_f64 v[30:31], v[30:31], -v[50:51]
	;; [unrolled: 4-line block ×4, first 2 shown]
	v_add_f64 v[56:57], v[56:57], -v[48:49]
	v_add_f64 v[58:59], v[58:59], -v[50:51]
	;; [unrolled: 1-line block ×4, first 2 shown]
	v_add_f64 v[76:77], v[32:33], v[28:29]
	v_add_f64 v[78:79], v[34:35], v[30:31]
	v_add_f64 v[80:81], v[32:33], -v[28:29]
	v_add_f64 v[82:83], v[34:35], -v[30:31]
	v_add_f64 v[44:45], v[48:49], v[44:45]
	v_add_f64 v[46:47], v[50:51], v[46:47]
	v_add_f64 v[28:29], v[28:29], -v[20:21]
	v_add_f64 v[30:31], v[30:31], -v[22:23]
	v_add_f64 v[32:33], v[20:21], -v[32:33]
	v_add_f64 v[34:35], v[22:23], -v[34:35]
	v_add_f64 v[20:21], v[76:77], v[20:21]
	v_add_f64 v[22:23], v[78:79], v[22:23]
	v_mul_f64 v[48:49], v[56:57], s[4:5]
	v_mul_f64 v[50:51], v[58:59], s[4:5]
	;; [unrolled: 1-line block ×6, first 2 shown]
	v_add_f64 v[12:13], v[12:13], v[44:45]
	v_add_f64 v[14:15], v[14:15], v[46:47]
	v_mul_f64 v[80:81], v[28:29], s[16:17]
	v_mul_f64 v[82:83], v[30:31], s[16:17]
	v_fma_f64 v[52:53], v[52:53], s[2:3], v[48:49]
	v_fma_f64 v[54:55], v[54:55], s[2:3], v[50:51]
	v_fma_f64 v[56:57], v[72:73], s[22:23], -v[56:57]
	v_fma_f64 v[58:59], v[74:75], s[22:23], -v[58:59]
	s_mov_b32 s23, 0xbfe77f67
	v_fma_f64 v[84:85], v[32:33], s[24:25], v[76:77]
	v_fma_f64 v[86:87], v[34:35], s[24:25], v[78:79]
	s_mov_b32 s25, 0xbfd5d0dc
	v_fma_f64 v[44:45], v[44:45], s[18:19], v[12:13]
	v_fma_f64 v[46:47], v[46:47], s[18:19], v[14:15]
	v_fma_f64 v[48:49], v[72:73], s[22:23], -v[48:49]
	v_fma_f64 v[50:51], v[74:75], s[22:23], -v[50:51]
	;; [unrolled: 1-line block ×6, first 2 shown]
	v_fma_f64 v[72:73], v[20:21], s[26:27], v[84:85]
	v_fma_f64 v[74:75], v[22:23], s[26:27], v[86:87]
	v_add_f64 v[52:53], v[52:53], v[44:45]
	v_add_f64 v[54:55], v[54:55], v[46:47]
	v_fma_f64 v[82:83], v[20:21], s[26:27], v[32:33]
	v_fma_f64 v[80:81], v[22:23], s[26:27], v[34:35]
	v_add_f64 v[48:49], v[48:49], v[44:45]
	v_add_f64 v[50:51], v[50:51], v[46:47]
	;; [unrolled: 4-line block ×3, first 2 shown]
	v_add_f64 v[20:21], v[74:75], v[52:53]
	v_add_f64 v[22:23], v[54:55], -v[72:73]
	v_add_f64 v[28:29], v[80:81], v[48:49]
	v_add_f64 v[30:31], v[50:51], -v[82:83]
	v_add_f64 v[80:81], v[48:49], -v[80:81]
	v_add_f64 v[82:83], v[82:83], v[50:51]
	v_add_f64 v[32:33], v[44:45], -v[78:79]
	v_add_f64 v[34:35], v[76:77], v[46:47]
	v_add_f64 v[44:45], v[78:79], v[44:45]
	v_add_f64 v[46:47], v[46:47], -v[76:77]
	v_add_f64 v[76:77], v[52:53], -v[74:75]
	v_add_f64 v[78:79], v[72:73], v[54:55]
	ds_write_b128 v216, v[12:15]
	ds_write_b128 v216, v[20:23] offset:176
	ds_write_b128 v216, v[28:31] offset:352
	ds_write_b128 v216, v[32:35] offset:528
	ds_write_b128 v216, v[44:47] offset:704
	ds_write_b128 v216, v[80:83] offset:880
	ds_write_b128 v216, v[76:79] offset:1056
	s_waitcnt lgkmcnt(0)
	; wave barrier
	s_waitcnt lgkmcnt(0)
	ds_read_b128 v[72:75], v213
	ds_read_b128 v[96:99], v213 offset:1232
	ds_read_b128 v[92:95], v213 offset:2464
	;; [unrolled: 1-line block ×4, first 2 shown]
	v_cmp_gt_u16_e64 s[2:3], 22, v112
	s_and_saveexec_b64 s[4:5], s[2:3]
	s_cbranch_execz .LBB0_9
; %bb.8:
	ds_read_b128 v[80:83], v213 offset:880
	ds_read_b128 v[76:79], v213 offset:2112
	;; [unrolled: 1-line block ×5, first 2 shown]
.LBB0_9:
	s_or_b64 exec, exec, s[4:5]
	v_add_co_u32_e32 v12, vcc, 55, v112
	v_addc_co_u32_e64 v13, s[4:5], 0, 0, vcc
	v_lshlrev_b32_e32 v14, 6, v112
	global_load_dwordx4 v[44:47], v14, s[14:15] offset:1104
	global_load_dwordx4 v[48:51], v14, s[14:15] offset:1088
	global_load_dwordx4 v[52:55], v14, s[14:15] offset:1072
	global_load_dwordx4 v[56:59], v14, s[14:15] offset:1056
	s_movk_i32 s4, 0xffea
	v_add_co_u32_e32 v14, vcc, s4, v112
	v_addc_co_u32_e64 v15, s[4:5], 0, -1, vcc
	v_cndmask_b32_e64 v13, v15, v13, s[2:3]
	v_cndmask_b32_e64 v12, v14, v12, s[2:3]
	v_lshlrev_b64 v[12:13], 6, v[12:13]
	v_mov_b32_e32 v14, s15
	v_add_co_u32_e32 v100, vcc, s14, v12
	v_addc_co_u32_e32 v101, vcc, v14, v13, vcc
	global_load_dwordx4 v[12:15], v[100:101], off offset:1056
	global_load_dwordx4 v[32:35], v[100:101], off offset:1072
	;; [unrolled: 1-line block ×4, first 2 shown]
	s_mov_b32 s16, 0x134454ff
	s_mov_b32 s17, 0x3fee6f0e
	s_mov_b32 s21, 0xbfee6f0e
	s_mov_b32 s20, s16
	s_mov_b32 s4, 0x4755a5e
	s_mov_b32 s5, 0x3fe2cf23
	s_mov_b32 s19, 0xbfe2cf23
	s_mov_b32 s18, s4
	s_mov_b32 s14, 0x372fe950
	s_mov_b32 s15, 0x3fd3c6ef
	s_waitcnt vmcnt(7) lgkmcnt(0)
	v_mul_f64 v[113:114], v[86:87], v[46:47]
	s_waitcnt vmcnt(6)
	v_mul_f64 v[108:109], v[90:91], v[50:51]
	s_waitcnt vmcnt(5)
	v_mul_f64 v[104:105], v[94:95], v[54:55]
	s_waitcnt vmcnt(4)
	v_mul_f64 v[100:101], v[98:99], v[58:59]
	v_mul_f64 v[102:103], v[96:97], v[58:59]
	;; [unrolled: 1-line block ×5, first 2 shown]
	v_fma_f64 v[84:85], v[84:85], v[44:45], -v[113:114]
	v_fma_f64 v[88:89], v[88:89], v[48:49], -v[108:109]
	v_fma_f64 v[92:93], v[92:93], v[52:53], -v[104:105]
	v_fma_f64 v[96:97], v[96:97], v[56:57], -v[100:101]
	v_fma_f64 v[98:99], v[98:99], v[56:57], v[102:103]
	v_fma_f64 v[94:95], v[94:95], v[52:53], v[106:107]
	s_waitcnt vmcnt(3)
	v_mul_f64 v[117:118], v[78:79], v[14:15]
	v_mul_f64 v[119:120], v[76:77], v[14:15]
	s_waitcnt vmcnt(2)
	v_mul_f64 v[121:122], v[62:63], v[34:35]
	v_mul_f64 v[123:124], v[60:61], v[34:35]
	s_waitcnt vmcnt(1)
	v_mul_f64 v[125:126], v[66:67], v[30:31]
	s_waitcnt vmcnt(0)
	v_mul_f64 v[129:130], v[70:71], v[231:232]
	v_mul_f64 v[131:132], v[68:69], v[231:232]
	v_fma_f64 v[90:91], v[90:91], v[48:49], v[110:111]
	v_fma_f64 v[86:87], v[86:87], v[44:45], v[115:116]
	v_mul_f64 v[127:128], v[64:65], v[30:31]
	v_fma_f64 v[100:101], v[76:77], v[12:13], -v[117:118]
	v_fma_f64 v[102:103], v[78:79], v[12:13], v[119:120]
	v_fma_f64 v[104:105], v[60:61], v[32:33], -v[121:122]
	v_fma_f64 v[106:107], v[62:63], v[32:33], v[123:124]
	v_fma_f64 v[108:109], v[64:65], v[28:29], -v[125:126]
	v_fma_f64 v[113:114], v[68:69], v[229:230], -v[129:130]
	v_fma_f64 v[115:116], v[70:71], v[229:230], v[131:132]
	v_add_f64 v[60:61], v[72:73], v[96:97]
	v_add_f64 v[62:63], v[92:93], v[88:89]
	v_add_f64 v[68:69], v[96:97], -v[92:93]
	v_add_f64 v[70:71], v[84:85], -v[88:89]
	v_add_f64 v[76:77], v[96:97], v[84:85]
	v_add_f64 v[78:79], v[92:93], -v[96:97]
	v_add_f64 v[117:118], v[88:89], -v[84:85]
	v_add_f64 v[119:120], v[74:75], v[98:99]
	v_add_f64 v[121:122], v[94:95], v[90:91]
	;; [unrolled: 1-line block ×3, first 2 shown]
	v_fma_f64 v[110:111], v[66:67], v[28:29], v[127:128]
	v_add_f64 v[64:65], v[98:99], -v[86:87]
	v_add_f64 v[66:67], v[94:95], -v[90:91]
	v_add_f64 v[96:97], v[96:97], -v[84:85]
	v_add_f64 v[123:124], v[92:93], -v[88:89]
	v_add_f64 v[135:136], v[104:105], v[108:109]
	v_add_f64 v[60:61], v[60:61], v[92:93]
	v_fma_f64 v[62:63], v[62:63], -0.5, v[72:73]
	v_add_f64 v[68:69], v[68:69], v[70:71]
	v_fma_f64 v[70:71], v[76:77], -0.5, v[72:73]
	v_add_f64 v[72:73], v[78:79], v[117:118]
	v_add_f64 v[76:77], v[119:120], v[94:95]
	v_fma_f64 v[78:79], v[121:122], -0.5, v[74:75]
	v_fma_f64 v[74:75], v[129:130], -0.5, v[74:75]
	v_add_f64 v[125:126], v[98:99], -v[94:95]
	v_add_f64 v[127:128], v[86:87], -v[90:91]
	;; [unrolled: 1-line block ×4, first 2 shown]
	v_add_f64 v[133:134], v[80:81], v[100:101]
	v_add_f64 v[137:138], v[102:103], -v[115:116]
	v_fma_f64 v[117:118], v[135:136], -0.5, v[80:81]
	v_add_f64 v[60:61], v[60:61], v[88:89]
	v_fma_f64 v[88:89], v[64:65], s[16:17], v[62:63]
	v_fma_f64 v[62:63], v[64:65], s[20:21], v[62:63]
	;; [unrolled: 1-line block ×4, first 2 shown]
	v_add_f64 v[76:77], v[76:77], v[90:91]
	v_fma_f64 v[90:91], v[96:97], s[20:21], v[78:79]
	v_fma_f64 v[121:122], v[123:124], s[16:17], v[74:75]
	v_add_f64 v[139:140], v[106:107], -v[110:111]
	v_add_f64 v[141:142], v[100:101], -v[104:105]
	;; [unrolled: 1-line block ×3, first 2 shown]
	v_add_f64 v[92:93], v[125:126], v[127:128]
	v_add_f64 v[94:95], v[98:99], v[131:132]
	;; [unrolled: 1-line block ×3, first 2 shown]
	v_fma_f64 v[74:75], v[123:124], s[20:21], v[74:75]
	v_fma_f64 v[125:126], v[137:138], s[16:17], v[117:118]
	v_add_f64 v[60:61], v[60:61], v[84:85]
	v_fma_f64 v[84:85], v[66:67], s[4:5], v[88:89]
	v_fma_f64 v[66:67], v[66:67], s[18:19], v[62:63]
	;; [unrolled: 1-line block ×4, first 2 shown]
	v_add_f64 v[62:63], v[76:77], v[86:87]
	v_fma_f64 v[86:87], v[123:124], s[18:19], v[90:91]
	v_fma_f64 v[90:91], v[96:97], s[18:19], v[121:122]
	v_add_f64 v[145:146], v[100:101], v[113:114]
	v_fma_f64 v[78:79], v[96:97], s[16:17], v[78:79]
	v_fma_f64 v[74:75], v[96:97], s[4:5], v[74:75]
	;; [unrolled: 1-line block ×6, first 2 shown]
	v_add_f64 v[84:85], v[98:99], v[108:109]
	v_fma_f64 v[88:89], v[139:140], s[4:5], v[125:126]
	v_add_f64 v[96:97], v[141:142], v[143:144]
	v_fma_f64 v[70:71], v[94:95], s[14:15], v[90:91]
	v_add_f64 v[90:91], v[106:107], v[110:111]
	v_add_f64 v[98:99], v[102:103], v[115:116]
	v_fma_f64 v[78:79], v[123:124], s[4:5], v[78:79]
	v_fma_f64 v[66:67], v[92:93], s[14:15], v[86:87]
	v_fma_f64 v[86:87], v[145:146], -0.5, v[80:81]
	v_fma_f64 v[74:75], v[94:95], s[14:15], v[74:75]
	v_add_f64 v[80:81], v[84:85], v[113:114]
	v_fma_f64 v[84:85], v[96:97], s[14:15], v[88:89]
	v_fma_f64 v[88:89], v[137:138], s[20:21], v[117:118]
	v_add_f64 v[94:95], v[104:105], -v[100:101]
	v_add_f64 v[117:118], v[108:109], -v[113:114]
	v_add_f64 v[119:120], v[82:83], v[102:103]
	v_fma_f64 v[90:91], v[90:91], -0.5, v[82:83]
	v_add_f64 v[100:101], v[100:101], -v[113:114]
	v_add_f64 v[104:105], v[104:105], -v[108:109]
	v_fma_f64 v[82:83], v[98:99], -0.5, v[82:83]
	v_fma_f64 v[78:79], v[92:93], s[14:15], v[78:79]
	v_fma_f64 v[92:93], v[139:140], s[20:21], v[86:87]
	v_add_f64 v[94:95], v[94:95], v[117:118]
	v_fma_f64 v[86:87], v[139:140], s[16:17], v[86:87]
	v_add_f64 v[98:99], v[119:120], v[106:107]
	v_fma_f64 v[108:109], v[100:101], s[20:21], v[90:91]
	v_add_f64 v[113:114], v[102:103], -v[106:107]
	v_add_f64 v[117:118], v[115:116], -v[110:111]
	v_fma_f64 v[90:91], v[100:101], s[16:17], v[90:91]
	v_fma_f64 v[119:120], v[104:105], s[16:17], v[82:83]
	v_add_f64 v[102:103], v[106:107], -v[102:103]
	v_add_f64 v[106:107], v[110:111], -v[115:116]
	v_fma_f64 v[82:83], v[104:105], s[20:21], v[82:83]
	v_fma_f64 v[88:89], v[139:140], s[18:19], v[88:89]
	;; [unrolled: 1-line block ×4, first 2 shown]
	v_add_f64 v[98:99], v[98:99], v[110:111]
	v_fma_f64 v[108:109], v[104:105], s[18:19], v[108:109]
	v_add_f64 v[110:111], v[113:114], v[117:118]
	v_fma_f64 v[90:91], v[104:105], s[4:5], v[90:91]
	v_fma_f64 v[104:105], v[100:101], s[18:19], v[119:120]
	v_add_f64 v[102:103], v[102:103], v[106:107]
	v_fma_f64 v[100:101], v[100:101], s[4:5], v[82:83]
	v_fma_f64 v[96:97], v[96:97], s[14:15], v[88:89]
	;; [unrolled: 1-line block ×4, first 2 shown]
	v_add_f64 v[82:83], v[98:99], v[115:116]
	v_fma_f64 v[86:87], v[110:111], s[14:15], v[108:109]
	v_fma_f64 v[98:99], v[110:111], s[14:15], v[90:91]
	;; [unrolled: 1-line block ×4, first 2 shown]
	ds_write_b128 v213, v[60:63]
	ds_write_b128 v213, v[64:67] offset:1232
	ds_write_b128 v213, v[68:71] offset:2464
	;; [unrolled: 1-line block ×4, first 2 shown]
	s_and_saveexec_b64 s[4:5], s[2:3]
	s_cbranch_execz .LBB0_11
; %bb.10:
	ds_write_b128 v213, v[80:83] offset:880
	ds_write_b128 v213, v[84:87] offset:2112
	;; [unrolled: 1-line block ×5, first 2 shown]
.LBB0_11:
	s_or_b64 exec, exec, s[4:5]
	s_waitcnt lgkmcnt(0)
	; wave barrier
	s_waitcnt lgkmcnt(0)
	s_and_saveexec_b64 s[14:15], s[0:1]
	s_cbranch_execz .LBB0_13
; %bb.12:
	v_mov_b32_e32 v100, s13
	v_add_co_u32_e32 v125, vcc, s12, v213
	v_addc_co_u32_e32 v138, vcc, 0, v100, vcc
	v_add_co_u32_e32 v141, vcc, 0x1810, v125
	v_addc_co_u32_e32 v142, vcc, 0, v138, vcc
	global_load_dwordx4 v[100:103], v[141:142], off offset:560
	global_load_dwordx4 v[104:107], v[141:142], off offset:1120
	;; [unrolled: 1-line block ×6, first 2 shown]
	s_movk_i32 s4, 0x2000
	v_add_co_u32_e32 v137, vcc, 0x1000, v125
	v_add_co_u32_e64 v133, s[4:5], s4, v125
	v_addc_co_u32_e64 v134, s[4:5], 0, v138, s[4:5]
	v_addc_co_u32_e32 v138, vcc, 0, v138, vcc
	global_load_dwordx4 v[125:128], v[133:134], off offset:2448
	global_load_dwordx4 v[129:132], v[133:134], off offset:3008
	s_nop 0
	global_load_dwordx4 v[133:136], v[133:134], off offset:3568
	s_nop 0
	;; [unrolled: 2-line block ×3, first 2 shown]
	global_load_dwordx4 v[141:144], v[141:142], off offset:3920
	ds_read_b128 v[145:148], v213
	ds_read_b128 v[149:152], v213 offset:560
	ds_read_b128 v[153:156], v213 offset:1120
	;; [unrolled: 1-line block ×10, first 2 shown]
	s_waitcnt vmcnt(9) lgkmcnt(8)
	v_mul_f64 v[191:192], v[155:156], v[106:107]
	v_mul_f64 v[106:107], v[153:154], v[106:107]
	s_waitcnt vmcnt(8) lgkmcnt(7)
	v_mul_f64 v[193:194], v[159:160], v[110:111]
	v_mul_f64 v[189:190], v[151:152], v[102:103]
	;; [unrolled: 1-line block ×4, first 2 shown]
	s_waitcnt vmcnt(7) lgkmcnt(6)
	v_mul_f64 v[195:196], v[163:164], v[115:116]
	v_mul_f64 v[115:116], v[161:162], v[115:116]
	s_waitcnt vmcnt(6) lgkmcnt(5)
	v_mul_f64 v[197:198], v[167:168], v[119:120]
	v_mul_f64 v[119:120], v[165:166], v[119:120]
	;; [unrolled: 3-line block ×6, first 2 shown]
	s_waitcnt vmcnt(1)
	v_mul_f64 v[207:208], v[147:148], v[139:140]
	v_mul_f64 v[139:140], v[145:146], v[139:140]
	s_waitcnt vmcnt(0)
	v_mul_f64 v[209:210], v[175:176], v[143:144]
	v_mul_f64 v[143:144], v[173:174], v[143:144]
	v_fma_f64 v[149:150], v[149:150], v[100:101], -v[189:190]
	v_fma_f64 v[151:152], v[151:152], v[100:101], v[102:103]
	v_fma_f64 v[100:101], v[153:154], v[104:105], -v[191:192]
	v_fma_f64 v[102:103], v[155:156], v[104:105], v[106:107]
	;; [unrolled: 2-line block ×11, first 2 shown]
	ds_write_b128 v213, v[149:152] offset:560
	ds_write_b128 v213, v[100:103] offset:1120
	;; [unrolled: 1-line block ×8, first 2 shown]
	ds_write_b128 v213, v[133:136]
	ds_write_b128 v213, v[137:140] offset:3920
	ds_write_b128 v213, v[129:132] offset:5600
.LBB0_13:
	s_or_b64 exec, exec, s[14:15]
	s_waitcnt lgkmcnt(0)
	; wave barrier
	s_waitcnt lgkmcnt(0)
	s_and_saveexec_b64 s[4:5], s[0:1]
	s_cbranch_execz .LBB0_15
; %bb.14:
	ds_read_b128 v[60:63], v213
	ds_read_b128 v[64:67], v213 offset:560
	ds_read_b128 v[68:71], v213 offset:1120
	;; [unrolled: 1-line block ×10, first 2 shown]
.LBB0_15:
	s_or_b64 exec, exec, s[4:5]
	s_waitcnt lgkmcnt(0)
	v_add_f64 v[117:118], v[66:67], -v[2:3]
	v_add_f64 v[115:116], v[66:67], v[2:3]
	s_mov_b32 s4, 0xd9c712b6
	s_mov_b32 s16, 0x8eee2c13
	;; [unrolled: 1-line block ×6, first 2 shown]
	v_add_f64 v[113:114], v[64:65], v[0:1]
	v_add_f64 v[131:132], v[64:65], -v[0:1]
	v_mul_f64 v[20:21], v[117:118], s[16:17]
	v_mul_f64 v[135:136], v[115:116], s[4:5]
	;; [unrolled: 1-line block ×3, first 2 shown]
	v_add_f64 v[123:124], v[70:71], -v[98:99]
	v_add_f64 v[121:122], v[70:71], v[98:99]
	s_mov_b32 s14, 0x640f44db
	s_mov_b32 s18, 0x7f775887
	;; [unrolled: 1-line block ×6, first 2 shown]
	v_mul_f64 v[239:240], v[115:116], s[14:15]
	v_mul_f64 v[171:172], v[117:118], s[24:25]
	v_fma_f64 v[100:101], v[113:114], s[4:5], -v[20:21]
	v_fma_f64 v[102:103], v[131:132], s[16:17], v[135:136]
	v_fma_f64 v[104:105], v[113:114], s[14:15], -v[159:160]
	v_add_f64 v[119:120], v[68:69], v[96:97]
	v_add_f64 v[129:130], v[68:69], -v[96:97]
	v_mul_f64 v[143:144], v[123:124], s[24:25]
	v_mul_f64 v[163:164], v[121:122], s[18:19]
	;; [unrolled: 1-line block ×3, first 2 shown]
	v_add_f64 v[133:134], v[74:75], -v[94:95]
	v_add_f64 v[127:128], v[74:75], v[94:95]
	s_mov_b32 s22, 0x9bcd5057
	s_mov_b32 s23, 0xbfeeb42a
	;; [unrolled: 1-line block ×4, first 2 shown]
	v_mul_f64 v[183:184], v[115:116], s[18:19]
	v_fma_f64 v[106:107], v[131:132], s[20:21], v[239:240]
	v_fma_f64 v[108:109], v[113:114], s[18:19], -v[171:172]
	v_add_f64 v[100:101], v[60:61], v[100:101]
	v_add_f64 v[102:103], v[62:63], v[102:103]
	;; [unrolled: 1-line block ×3, first 2 shown]
	v_mul_f64 v[179:180], v[121:122], s[22:23]
	v_mul_f64 v[177:178], v[123:124], s[40:41]
	v_fma_f64 v[137:138], v[119:120], s[18:19], -v[143:144]
	v_fma_f64 v[139:140], v[129:130], s[24:25], v[163:164]
	v_fma_f64 v[147:148], v[119:120], s[22:23], -v[175:176]
	v_add_f64 v[125:126], v[72:73], v[92:93]
	v_add_f64 v[141:142], v[72:73], -v[92:93]
	v_mul_f64 v[22:23], v[133:134], s[38:39]
	v_mul_f64 v[173:174], v[127:128], s[22:23]
	s_mov_b32 s30, 0xf8bb580b
	s_mov_b32 s36, s16
	;; [unrolled: 1-line block ×3, first 2 shown]
	v_fma_f64 v[110:111], v[131:132], s[24:25], v[183:184]
	v_add_f64 v[106:107], v[62:63], v[106:107]
	v_add_f64 v[108:109], v[60:61], v[108:109]
	v_mul_f64 v[195:196], v[121:122], s[14:15]
	v_fma_f64 v[149:150], v[129:130], s[38:39], v[179:180]
	v_fma_f64 v[151:152], v[119:120], s[14:15], -v[177:178]
	v_add_f64 v[100:101], v[137:138], v[100:101]
	v_add_f64 v[102:103], v[139:140], v[102:103]
	;; [unrolled: 1-line block ×3, first 2 shown]
	v_fma_f64 v[137:138], v[125:126], s[22:23], -v[22:23]
	v_fma_f64 v[139:140], v[141:142], s[38:39], v[173:174]
	v_mul_f64 v[181:182], v[133:134], s[36:37]
	v_mul_f64 v[191:192], v[133:134], s[30:31]
	v_add_f64 v[147:148], v[78:79], -v[90:91]
	s_mov_b32 s28, 0x8764f0ba
	s_mov_b32 s29, 0x3feaeb8c
	v_add_f64 v[110:111], v[62:63], v[110:111]
	v_fma_f64 v[155:156], v[129:130], s[40:41], v[195:196]
	v_add_f64 v[106:107], v[149:150], v[106:107]
	v_add_f64 v[108:109], v[151:152], v[108:109]
	v_mul_f64 v[187:188], v[127:128], s[4:5]
	v_mul_f64 v[207:208], v[127:128], s[28:29]
	v_add_f64 v[100:101], v[137:138], v[100:101]
	v_add_f64 v[102:103], v[139:140], v[102:103]
	;; [unrolled: 1-line block ×3, first 2 shown]
	v_fma_f64 v[149:150], v[125:126], s[4:5], -v[181:182]
	v_fma_f64 v[161:162], v[125:126], s[28:29], -v[191:192]
	v_add_f64 v[137:138], v[76:77], v[88:89]
	v_mul_f64 v[145:146], v[147:148], s[40:41]
	v_mul_f64 v[193:194], v[147:148], s[30:31]
	v_add_f64 v[110:111], v[155:156], v[110:111]
	v_fma_f64 v[151:152], v[141:142], s[36:37], v[187:188]
	v_fma_f64 v[165:166], v[141:142], s[30:31], v[207:208]
	v_add_f64 v[155:156], v[76:77], -v[88:89]
	v_mul_f64 v[185:186], v[139:140], s[14:15]
	v_mul_f64 v[199:200], v[139:140], s[28:29]
	v_add_f64 v[104:105], v[149:150], v[104:105]
	v_add_f64 v[108:109], v[161:162], v[108:109]
	v_fma_f64 v[149:150], v[137:138], s[14:15], -v[145:146]
	v_fma_f64 v[161:162], v[137:138], s[28:29], -v[193:194]
	s_mov_b32 s34, s38
	v_add_f64 v[106:107], v[151:152], v[106:107]
	v_add_f64 v[110:111], v[165:166], v[110:111]
	v_fma_f64 v[151:152], v[155:156], s[40:41], v[185:186]
	v_fma_f64 v[165:166], v[155:156], s[30:31], v[199:200]
	v_mul_f64 v[197:198], v[147:148], s[34:35]
	v_mul_f64 v[209:210], v[139:140], s[22:23]
	v_add_f64 v[100:101], v[149:150], v[100:101]
	v_add_f64 v[104:105], v[161:162], v[104:105]
	v_add_f64 v[161:162], v[82:83], -v[86:87]
	v_add_f64 v[149:150], v[82:83], v[86:87]
	s_mov_b32 s43, 0x3fe14ced
	s_mov_b32 s42, s30
	v_add_f64 v[102:103], v[151:152], v[102:103]
	v_add_f64 v[106:107], v[165:166], v[106:107]
	v_fma_f64 v[217:218], v[137:138], s[22:23], -v[197:198]
	v_fma_f64 v[219:220], v[155:156], s[34:35], v[209:210]
	v_add_f64 v[151:152], v[80:81], v[84:85]
	v_add_f64 v[165:166], v[80:81], -v[84:85]
	v_mul_f64 v[153:154], v[161:162], s[42:43]
	v_mul_f64 v[189:190], v[149:150], s[28:29]
	v_mul_f64 v[201:202], v[161:162], s[24:25]
	v_mul_f64 v[205:206], v[149:150], s[18:19]
	v_mul_f64 v[203:204], v[161:162], s[36:37]
	v_mul_f64 v[211:212], v[149:150], s[4:5]
	v_add_f64 v[217:218], v[217:218], v[108:109]
	v_add_f64 v[219:220], v[219:220], v[110:111]
	v_fma_f64 v[108:109], v[151:152], s[28:29], -v[153:154]
	v_fma_f64 v[110:111], v[165:166], s[42:43], v[189:190]
	v_fma_f64 v[221:222], v[151:152], s[18:19], -v[201:202]
	v_fma_f64 v[223:224], v[165:166], s[24:25], v[205:206]
	;; [unrolled: 2-line block ×3, first 2 shown]
	s_waitcnt lgkmcnt(0)
	; wave barrier
	v_add_f64 v[108:109], v[108:109], v[100:101]
	v_add_f64 v[110:111], v[110:111], v[102:103]
	;; [unrolled: 1-line block ×6, first 2 shown]
	s_and_saveexec_b64 s[26:27], s[0:1]
	s_cbranch_execz .LBB0_17
; %bb.16:
	v_mul_f64 v[157:158], v[113:114], s[4:5]
	v_mul_f64 v[243:244], v[131:132], s[34:35]
	v_mov_b32_e32 v170, v35
	v_mov_b32_e32 v169, v34
	;; [unrolled: 1-line block ×6, first 2 shown]
	buffer_store_dword v157, off, s[44:47], 0 offset:56 ; 4-byte Folded Spill
	s_nop 0
	buffer_store_dword v158, off, s[44:47], 0 offset:60 ; 4-byte Folded Spill
	v_mul_f64 v[157:158], v[131:132], s[16:17]
	v_fma_f64 v[241:242], v[115:116], s[22:23], v[243:244]
	v_mov_b32_e32 v33, v29
	v_mov_b32_e32 v32, v28
	;; [unrolled: 1-line block ×6, first 2 shown]
	buffer_store_dword v157, off, s[44:47], 0 offset:72 ; 4-byte Folded Spill
	s_nop 0
	buffer_store_dword v158, off, s[44:47], 0 offset:76 ; 4-byte Folded Spill
	v_mul_f64 v[157:158], v[113:114], s[14:15]
	v_mul_f64 v[231:232], v[141:142], s[24:25]
	v_add_f64 v[241:242], v[62:63], v[241:242]
	v_mul_f64 v[245:246], v[117:118], s[34:35]
	v_mul_f64 v[247:248], v[155:156], s[36:37]
	;; [unrolled: 1-line block ×4, first 2 shown]
	v_fma_f64 v[243:244], v[115:116], s[22:23], -v[243:244]
	buffer_store_dword v157, off, s[44:47], 0 offset:104 ; 4-byte Folded Spill
	s_nop 0
	buffer_store_dword v158, off, s[44:47], 0 offset:108 ; 4-byte Folded Spill
	v_mul_f64 v[157:158], v[113:114], s[18:19]
	v_mul_f64 v[217:218], v[131:132], s[24:25]
	v_fma_f64 v[237:238], v[113:114], s[22:23], -v[245:246]
	v_fma_f64 v[245:246], v[113:114], s[22:23], v[245:246]
	v_fma_f64 v[251:252], v[119:120], s[28:29], -v[229:230]
	v_add_f64 v[195:196], v[195:196], -v[219:220]
	v_add_f64 v[243:244], v[62:63], v[243:244]
	v_fma_f64 v[229:230], v[119:120], s[28:29], v[229:230]
	buffer_store_dword v157, off, s[44:47], 0 offset:160 ; 4-byte Folded Spill
	s_nop 0
	buffer_store_dword v158, off, s[44:47], 0 offset:164 ; 4-byte Folded Spill
	v_mul_f64 v[157:158], v[119:120], s[18:19]
	v_add_f64 v[237:238], v[60:61], v[237:238]
	v_add_f64 v[183:184], v[183:184], -v[217:218]
	v_add_f64 v[217:218], v[60:61], v[245:246]
	v_mul_f64 v[223:224], v[131:132], s[20:21]
	v_mul_f64 v[221:222], v[129:130], s[38:39]
	;; [unrolled: 1-line block ×4, first 2 shown]
	buffer_store_dword v157, off, s[44:47], 0 offset:40 ; 4-byte Folded Spill
	s_nop 0
	buffer_store_dword v158, off, s[44:47], 0 offset:44 ; 4-byte Folded Spill
	v_mul_f64 v[157:158], v[129:130], s[24:25]
	v_add_f64 v[237:238], v[251:252], v[237:238]
	v_add_f64 v[183:184], v[62:63], v[183:184]
	;; [unrolled: 1-line block ×3, first 2 shown]
	v_add_f64 v[179:180], v[179:180], -v[221:222]
	v_add_f64 v[207:208], v[207:208], -v[253:254]
	v_mul_f64 v[227:228], v[155:156], s[30:31]
	v_mul_f64 v[225:226], v[165:166], s[24:25]
	buffer_store_dword v157, off, s[44:47], 0 offset:64 ; 4-byte Folded Spill
	s_nop 0
	buffer_store_dword v158, off, s[44:47], 0 offset:68 ; 4-byte Folded Spill
	v_mul_f64 v[157:158], v[119:120], s[22:23]
	v_add_f64 v[183:184], v[195:196], v[183:184]
	v_add_f64 v[66:67], v[62:63], v[66:67]
	;; [unrolled: 1-line block ×3, first 2 shown]
	v_mul_f64 v[131:132], v[131:132], s[30:31]
	buffer_store_dword v157, off, s[44:47], 0 offset:96 ; 4-byte Folded Spill
	s_nop 0
	buffer_store_dword v158, off, s[44:47], 0 offset:100 ; 4-byte Folded Spill
	v_mul_f64 v[157:158], v[119:120], s[14:15]
	v_add_f64 v[66:67], v[66:67], v[70:71]
	v_add_f64 v[68:69], v[64:65], v[68:69]
	buffer_store_dword v157, off, s[44:47], 0 offset:136 ; 4-byte Folded Spill
	s_nop 0
	buffer_store_dword v158, off, s[44:47], 0 offset:140 ; 4-byte Folded Spill
	v_mul_f64 v[157:158], v[125:126], s[22:23]
	v_add_f64 v[66:67], v[66:67], v[74:75]
	v_add_f64 v[68:69], v[68:69], v[72:73]
	buffer_store_dword v157, off, s[44:47], 0 ; 4-byte Folded Spill
	s_nop 0
	buffer_store_dword v158, off, s[44:47], 0 offset:4 ; 4-byte Folded Spill
	v_mul_f64 v[157:158], v[141:142], s[38:39]
	v_add_f64 v[66:67], v[66:67], v[78:79]
	v_add_f64 v[68:69], v[68:69], v[76:77]
	v_mul_f64 v[76:77], v[117:118], s[30:31]
	v_mul_f64 v[117:118], v[123:124], s[16:17]
	;; [unrolled: 1-line block ×3, first 2 shown]
	buffer_store_dword v157, off, s[44:47], 0 offset:112 ; 4-byte Folded Spill
	s_nop 0
	buffer_store_dword v158, off, s[44:47], 0 offset:116 ; 4-byte Folded Spill
	v_mul_f64 v[157:158], v[125:126], s[4:5]
	v_add_f64 v[66:67], v[66:67], v[82:83]
	v_add_f64 v[68:69], v[68:69], v[80:81]
	v_fma_f64 v[80:81], v[113:114], s[28:29], v[76:77]
	v_fma_f64 v[76:77], v[113:114], s[28:29], -v[76:77]
	v_mul_f64 v[82:83], v[133:134], s[20:21]
	buffer_store_dword v157, off, s[44:47], 0 offset:144 ; 4-byte Folded Spill
	s_nop 0
	buffer_store_dword v158, off, s[44:47], 0 offset:148 ; 4-byte Folded Spill
	v_mul_f64 v[157:158], v[141:142], s[36:37]
	v_add_f64 v[66:67], v[66:67], v[86:87]
	v_add_f64 v[68:69], v[68:69], v[84:85]
	v_mul_f64 v[141:142], v[141:142], s[20:21]
	v_add_f64 v[80:81], v[60:61], v[80:81]
	v_fma_f64 v[84:85], v[119:120], s[4:5], -v[117:118]
	v_fma_f64 v[86:87], v[125:126], s[14:15], v[82:83]
	v_fma_f64 v[82:83], v[125:126], s[14:15], -v[82:83]
	buffer_store_dword v157, off, s[44:47], 0 offset:200 ; 4-byte Folded Spill
	s_nop 0
	buffer_store_dword v158, off, s[44:47], 0 offset:204 ; 4-byte Folded Spill
	v_mul_f64 v[157:158], v[125:126], s[28:29]
	v_add_f64 v[66:67], v[66:67], v[90:91]
	v_add_f64 v[68:69], v[68:69], v[88:89]
	v_fma_f64 v[72:73], v[127:128], s[14:15], v[141:142]
	buffer_store_dword v157, off, s[44:47], 0 offset:192 ; 4-byte Folded Spill
	s_nop 0
	buffer_store_dword v158, off, s[44:47], 0 offset:196 ; 4-byte Folded Spill
	v_mul_f64 v[157:158], v[137:138], s[14:15]
	v_add_f64 v[66:67], v[66:67], v[94:95]
	v_add_f64 v[68:69], v[68:69], v[92:93]
	buffer_store_dword v157, off, s[44:47], 0 offset:8 ; 4-byte Folded Spill
	s_nop 0
	buffer_store_dword v158, off, s[44:47], 0 offset:12 ; 4-byte Folded Spill
	buffer_store_dword v135, off, s[44:47], 0 offset:176 ; 4-byte Folded Spill
	s_nop 0
	buffer_store_dword v136, off, s[44:47], 0 offset:180 ; 4-byte Folded Spill
	v_mul_f64 v[157:158], v[155:156], s[40:41]
	v_mul_f64 v[135:136], v[129:130], s[42:43]
	;; [unrolled: 1-line block ×3, first 2 shown]
	v_add_f64 v[66:67], v[66:67], v[98:99]
	buffer_store_dword v157, off, s[44:47], 0 offset:88 ; 4-byte Folded Spill
	s_nop 0
	buffer_store_dword v158, off, s[44:47], 0 offset:92 ; 4-byte Folded Spill
	v_mul_f64 v[157:158], v[137:138], s[28:29]
	v_fma_f64 v[235:236], v[121:122], s[28:29], v[135:136]
	v_fma_f64 v[135:136], v[121:122], s[28:29], -v[135:136]
	v_fma_f64 v[70:71], v[121:122], s[4:5], v[129:130]
	v_fma_f64 v[113:114], v[121:122], s[4:5], -v[129:130]
	v_add_f64 v[2:3], v[66:67], v[2:3]
	buffer_store_dword v157, off, s[44:47], 0 offset:152 ; 4-byte Folded Spill
	s_nop 0
	buffer_store_dword v158, off, s[44:47], 0 offset:156 ; 4-byte Folded Spill
	v_mul_f64 v[157:158], v[137:138], s[22:23]
	v_add_f64 v[235:236], v[235:236], v[241:242]
	v_add_f64 v[135:136], v[135:136], v[243:244]
	v_mul_f64 v[243:244], v[161:162], s[20:21]
	v_mul_f64 v[241:242], v[151:152], s[4:5]
	buffer_store_dword v157, off, s[44:47], 0 offset:184 ; 4-byte Folded Spill
	s_nop 0
	buffer_store_dword v158, off, s[44:47], 0 offset:188 ; 4-byte Folded Spill
	buffer_store_dword v20, off, s[44:47], 0 offset:120 ; 4-byte Folded Spill
	s_nop 0
	buffer_store_dword v21, off, s[44:47], 0 offset:124 ; 4-byte Folded Spill
	;; [unrolled: 3-line block ×3, first 2 shown]
	v_mov_b32_e32 v23, v15
	v_mov_b32_e32 v22, v14
	;; [unrolled: 1-line block ×4, first 2 shown]
	v_mul_f64 v[12:13], v[151:152], s[28:29]
	v_fma_f64 v[157:158], v[139:140], s[4:5], v[247:248]
	buffer_store_dword v12, off, s[44:47], 0 offset:16 ; 4-byte Folded Spill
	s_nop 0
	buffer_store_dword v13, off, s[44:47], 0 offset:20 ; 4-byte Folded Spill
	v_mul_f64 v[12:13], v[165:166], s[42:43]
	buffer_store_dword v12, off, s[44:47], 0 offset:80 ; 4-byte Folded Spill
	s_nop 0
	buffer_store_dword v13, off, s[44:47], 0 offset:84 ; 4-byte Folded Spill
	v_mul_f64 v[12:13], v[151:152], s[18:19]
	buffer_store_dword v12, off, s[44:47], 0 offset:168 ; 4-byte Folded Spill
	s_nop 0
	buffer_store_dword v13, off, s[44:47], 0 offset:172 ; 4-byte Folded Spill
	buffer_store_dword v143, off, s[44:47], 0 offset:128 ; 4-byte Folded Spill
	s_nop 0
	buffer_store_dword v144, off, s[44:47], 0 offset:132 ; 4-byte Folded Spill
	v_fma_f64 v[143:144], v[127:128], s[18:19], v[231:232]
	buffer_store_dword v145, off, s[44:47], 0 offset:32 ; 4-byte Folded Spill
	s_nop 0
	buffer_store_dword v146, off, s[44:47], 0 offset:36 ; 4-byte Folded Spill
	buffer_store_dword v153, off, s[44:47], 0 offset:48 ; 4-byte Folded Spill
	s_nop 0
	buffer_store_dword v154, off, s[44:47], 0 offset:52 ; 4-byte Folded Spill
	v_mul_f64 v[153:154], v[165:166], s[20:21]
	v_mul_f64 v[12:13], v[147:148], s[36:37]
	v_fma_f64 v[231:232], v[127:128], s[18:19], -v[231:232]
	v_mul_f64 v[145:146], v[165:166], s[36:37]
	v_add_f64 v[143:144], v[143:144], v[235:236]
	v_mul_f64 v[235:236], v[133:134], s[24:25]
	v_fma_f64 v[249:250], v[149:150], s[14:15], v[153:154]
	v_fma_f64 v[251:252], v[137:138], s[4:5], -v[12:13]
	v_add_f64 v[135:136], v[231:232], v[135:136]
	v_fma_f64 v[231:232], v[151:152], s[14:15], -v[243:244]
	v_fma_f64 v[153:154], v[149:150], s[14:15], -v[153:154]
	v_add_f64 v[143:144], v[157:158], v[143:144]
	v_fma_f64 v[157:158], v[125:126], s[18:19], -v[235:236]
	v_fma_f64 v[235:236], v[125:126], s[18:19], v[235:236]
	v_add_f64 v[145:146], v[211:212], -v[145:146]
	v_add_f64 v[219:220], v[249:250], v[143:144]
	v_fma_f64 v[143:144], v[137:138], s[4:5], v[12:13]
	v_mov_b32_e32 v12, v20
	v_mov_b32_e32 v13, v21
	;; [unrolled: 1-line block ×4, first 2 shown]
	buffer_load_dword v20, off, s[44:47], 0 offset:160 ; 4-byte Folded Reload
	buffer_load_dword v21, off, s[44:47], 0 offset:164 ; 4-byte Folded Reload
	v_add_f64 v[157:158], v[157:158], v[237:238]
	v_add_f64 v[195:196], v[235:236], v[217:218]
	v_fma_f64 v[237:238], v[139:140], s[4:5], -v[247:248]
	v_add_f64 v[157:158], v[251:252], v[157:158]
	v_add_f64 v[143:144], v[143:144], v[195:196]
	;; [unrolled: 1-line block ×4, first 2 shown]
	v_mov_b32_e32 v232, v31
	v_mov_b32_e32 v231, v30
	;; [unrolled: 1-line block ×12, first 2 shown]
	v_add_f64 v[157:158], v[239:240], -v[223:224]
	v_add_f64 v[223:224], v[153:154], v[135:136]
	v_fma_f64 v[135:136], v[151:152], s[14:15], v[243:244]
	v_add_f64 v[153:154], v[209:210], -v[233:234]
	v_add_f64 v[157:158], v[62:63], v[157:158]
	v_add_f64 v[221:222], v[135:136], v[143:144]
	;; [unrolled: 1-line block ×3, first 2 shown]
	s_waitcnt vmcnt(0)
	v_add_f64 v[167:168], v[20:21], v[171:172]
	buffer_load_dword v20, off, s[44:47], 0 offset:104 ; 4-byte Folded Reload
	buffer_load_dword v21, off, s[44:47], 0 offset:108 ; 4-byte Folded Reload
	v_add_f64 v[171:172], v[207:208], v[183:184]
	v_add_f64 v[167:168], v[60:61], v[167:168]
	;; [unrolled: 1-line block ×3, first 2 shown]
	s_waitcnt vmcnt(0)
	v_add_f64 v[159:160], v[20:21], v[159:160]
	buffer_load_dword v20, off, s[44:47], 0 offset:136 ; 4-byte Folded Reload
	buffer_load_dword v21, off, s[44:47], 0 offset:140 ; 4-byte Folded Reload
	v_add_f64 v[171:172], v[60:61], v[159:160]
	v_add_f64 v[159:160], v[145:146], v[153:154]
	v_add_f64 v[145:146], v[199:200], -v[227:228]
	s_waitcnt vmcnt(0)
	v_add_f64 v[177:178], v[20:21], v[177:178]
	buffer_load_dword v20, off, s[44:47], 0 offset:200 ; 4-byte Folded Reload
	buffer_load_dword v21, off, s[44:47], 0 offset:204 ; 4-byte Folded Reload
	v_add_f64 v[167:168], v[177:178], v[167:168]
	v_fma_f64 v[177:178], v[115:116], s[28:29], v[131:132]
	v_fma_f64 v[115:116], v[115:116], s[28:29], -v[131:132]
	s_waitcnt vmcnt(0)
	v_add_f64 v[135:136], v[187:188], -v[20:21]
	buffer_load_dword v20, off, s[44:47], 0 offset:96 ; 4-byte Folded Reload
	buffer_load_dword v21, off, s[44:47], 0 offset:100 ; 4-byte Folded Reload
	v_add_f64 v[135:136], v[135:136], v[143:144]
	v_add_f64 v[135:136], v[145:146], v[135:136]
	s_waitcnt vmcnt(0)
	v_add_f64 v[157:158], v[20:21], v[175:176]
	buffer_load_dword v20, off, s[44:47], 0 offset:192 ; 4-byte Folded Reload
	buffer_load_dword v21, off, s[44:47], 0 offset:196 ; 4-byte Folded Reload
	v_add_f64 v[157:158], v[157:158], v[171:172]
	s_waitcnt vmcnt(0)
	v_add_f64 v[175:176], v[20:21], v[191:192]
	buffer_load_dword v20, off, s[44:47], 0 offset:72 ; 4-byte Folded Reload
	buffer_load_dword v21, off, s[44:47], 0 offset:76 ; 4-byte Folded Reload
	;; [unrolled: 1-line block ×4, first 2 shown]
	v_add_f64 v[167:168], v[175:176], v[167:168]
	v_add_f64 v[175:176], v[205:206], -v[225:226]
	v_add_f64 v[135:136], v[175:176], v[135:136]
	s_waitcnt vmcnt(0)
	v_add_f64 v[153:154], v[22:23], -v[20:21]
	buffer_load_dword v20, off, s[44:47], 0 offset:144 ; 4-byte Folded Reload
	buffer_load_dword v21, off, s[44:47], 0 offset:148 ; 4-byte Folded Reload
	v_add_f64 v[153:154], v[62:63], v[153:154]
	s_waitcnt vmcnt(0)
	v_add_f64 v[143:144], v[20:21], v[181:182]
	buffer_load_dword v20, off, s[44:47], 0 offset:184 ; 4-byte Folded Reload
	buffer_load_dword v21, off, s[44:47], 0 offset:188 ; 4-byte Folded Reload
	v_add_f64 v[143:144], v[143:144], v[157:158]
	v_add_f64 v[157:158], v[241:242], v[203:204]
	s_waitcnt vmcnt(0)
	v_add_f64 v[171:172], v[20:21], v[197:198]
	buffer_load_dword v20, off, s[44:47], 0 offset:64 ; 4-byte Folded Reload
	buffer_load_dword v21, off, s[44:47], 0 offset:68 ; 4-byte Folded Reload
	v_add_f64 v[167:168], v[171:172], v[167:168]
	v_add_f64 v[157:158], v[157:158], v[167:168]
	s_waitcnt vmcnt(0)
	v_add_f64 v[163:164], v[163:164], -v[20:21]
	buffer_load_dword v20, off, s[44:47], 0 offset:152 ; 4-byte Folded Reload
	buffer_load_dword v21, off, s[44:47], 0 offset:156 ; 4-byte Folded Reload
	v_add_f64 v[153:154], v[163:164], v[153:154]
	s_waitcnt vmcnt(0)
	v_add_f64 v[145:146], v[20:21], v[193:194]
	buffer_load_dword v20, off, s[44:47], 0 offset:112 ; 4-byte Folded Reload
	buffer_load_dword v21, off, s[44:47], 0 offset:116 ; 4-byte Folded Reload
	v_add_f64 v[143:144], v[145:146], v[143:144]
	s_waitcnt vmcnt(0)
	v_add_f64 v[171:172], v[173:174], -v[20:21]
	buffer_load_dword v20, off, s[44:47], 0 offset:56 ; 4-byte Folded Reload
	buffer_load_dword v21, off, s[44:47], 0 offset:60 ; 4-byte Folded Reload
	;; [unrolled: 1-line block ×4, first 2 shown]
	v_add_f64 v[153:154], v[171:172], v[153:154]
	s_waitcnt vmcnt(0)
	v_add_f64 v[173:174], v[20:21], v[22:23]
	buffer_load_dword v20, off, s[44:47], 0 offset:168 ; 4-byte Folded Reload
	buffer_load_dword v21, off, s[44:47], 0 offset:172 ; 4-byte Folded Reload
	v_add_f64 v[173:174], v[60:61], v[173:174]
	v_add_f64 v[60:61], v[60:61], v[76:77]
	v_fma_f64 v[76:77], v[127:128], s[14:15], -v[141:142]
	v_add_f64 v[60:61], v[84:85], v[60:61]
	v_add_f64 v[60:61], v[82:83], v[60:61]
	s_waitcnt vmcnt(0)
	v_add_f64 v[163:164], v[20:21], v[201:202]
	buffer_load_dword v20, off, s[44:47], 0 offset:88 ; 4-byte Folded Reload
	buffer_load_dword v21, off, s[44:47], 0 offset:92 ; 4-byte Folded Reload
	v_add_f64 v[133:134], v[163:164], v[143:144]
	s_waitcnt vmcnt(0)
	v_add_f64 v[145:146], v[185:186], -v[20:21]
	buffer_load_dword v20, off, s[44:47], 0 offset:40 ; 4-byte Folded Reload
	buffer_load_dword v21, off, s[44:47], 0 offset:44 ; 4-byte Folded Reload
	;; [unrolled: 1-line block ×4, first 2 shown]
	v_add_f64 v[145:146], v[145:146], v[153:154]
	v_add_f64 v[153:154], v[62:63], v[177:178]
	;; [unrolled: 1-line block ×3, first 2 shown]
	v_fma_f64 v[115:116], v[119:120], s[4:5], v[117:118]
	v_add_f64 v[70:71], v[70:71], v[153:154]
	v_add_f64 v[62:63], v[113:114], v[62:63]
	v_add_f64 v[80:81], v[115:116], v[80:81]
	v_add_f64 v[70:71], v[72:73], v[70:71]
	v_mul_f64 v[72:73], v[161:162], s[34:35]
	v_add_f64 v[62:63], v[76:77], v[62:63]
	v_fma_f64 v[76:77], v[137:138], s[18:19], v[78:79]
	v_add_f64 v[80:81], v[86:87], v[80:81]
	v_fma_f64 v[78:79], v[137:138], s[18:19], -v[78:79]
	v_add_f64 v[86:87], v[68:69], v[96:97]
	v_fma_f64 v[88:89], v[151:152], s[22:23], -v[72:73]
	v_add_f64 v[76:77], v[76:77], v[80:81]
	v_add_f64 v[60:61], v[78:79], v[60:61]
	;; [unrolled: 1-line block ×3, first 2 shown]
	s_waitcnt vmcnt(0)
	v_add_f64 v[175:176], v[20:21], v[22:23]
	buffer_load_dword v20, off, s[44:47], 0 offset:80 ; 4-byte Folded Reload
	buffer_load_dword v21, off, s[44:47], 0 offset:84 ; 4-byte Folded Reload
	v_add_f64 v[173:174], v[175:176], v[173:174]
	s_waitcnt vmcnt(0)
	v_add_f64 v[171:172], v[189:190], -v[20:21]
	buffer_load_dword v20, off, s[44:47], 0 ; 4-byte Folded Reload
	buffer_load_dword v21, off, s[44:47], 0 offset:4 ; 4-byte Folded Reload
	buffer_load_dword v22, off, s[44:47], 0 offset:24 ; 4-byte Folded Reload
	;; [unrolled: 1-line block ×3, first 2 shown]
	v_add_f64 v[64:65], v[171:172], v[145:146]
	v_mul_f64 v[145:146], v[155:156], s[24:25]
	v_mul_f64 v[155:156], v[165:166], s[34:35]
	v_fma_f64 v[84:85], v[139:140], s[18:19], -v[145:146]
	v_fma_f64 v[165:166], v[139:140], s[18:19], v[145:146]
	v_fma_f64 v[82:83], v[149:150], s[22:23], -v[155:156]
	v_fma_f64 v[80:81], v[149:150], s[22:23], v[155:156]
	v_add_f64 v[62:63], v[84:85], v[62:63]
	v_fma_f64 v[84:85], v[151:152], s[22:23], v[72:73]
	v_add_f64 v[70:71], v[165:166], v[70:71]
	v_add_f64 v[68:69], v[82:83], v[62:63]
	;; [unrolled: 1-line block ×5, first 2 shown]
	v_lshlrev_b32_e32 v60, 4, v215
	s_waitcnt vmcnt(0)
	v_add_f64 v[179:180], v[20:21], v[22:23]
	buffer_load_dword v20, off, s[44:47], 0 offset:8 ; 4-byte Folded Reload
	buffer_load_dword v21, off, s[44:47], 0 offset:12 ; 4-byte Folded Reload
	;; [unrolled: 1-line block ×4, first 2 shown]
	v_add_f64 v[173:174], v[179:180], v[173:174]
	s_waitcnt vmcnt(0)
	v_add_f64 v[175:176], v[20:21], v[22:23]
	buffer_load_dword v20, off, s[44:47], 0 offset:16 ; 4-byte Folded Reload
	buffer_load_dword v21, off, s[44:47], 0 offset:20 ; 4-byte Folded Reload
	;; [unrolled: 1-line block ×4, first 2 shown]
	v_add_f64 v[153:154], v[175:176], v[173:174]
	s_waitcnt vmcnt(0)
	v_add_f64 v[74:75], v[20:21], v[22:23]
	v_add_f64 v[62:63], v[74:75], v[153:154]
	ds_write_b128 v60, v[0:3]
	ds_write_b128 v60, v[66:69] offset:16
	ds_write_b128 v60, v[62:65] offset:32
	;; [unrolled: 1-line block ×10, first 2 shown]
.LBB0_17:
	s_or_b64 exec, exec, s[26:27]
	s_waitcnt lgkmcnt(0)
	; wave barrier
	s_waitcnt lgkmcnt(0)
	ds_read_b128 v[0:3], v213 offset:880
	ds_read_b128 v[60:63], v213 offset:1760
	;; [unrolled: 1-line block ×3, first 2 shown]
	ds_read_b128 v[68:71], v213
	ds_read_b128 v[72:75], v213 offset:3520
	ds_read_b128 v[76:79], v213 offset:4400
	;; [unrolled: 1-line block ×3, first 2 shown]
	s_mov_b32 s4, 0x37e14327
	s_waitcnt lgkmcnt(6)
	v_mul_f64 v[84:85], v[26:27], v[2:3]
	v_mul_f64 v[26:27], v[26:27], v[0:1]
	s_waitcnt lgkmcnt(5)
	v_mul_f64 v[86:87], v[18:19], v[62:63]
	v_mul_f64 v[18:19], v[18:19], v[60:61]
	s_mov_b32 s5, 0x3fe948f6
	s_mov_b32 s14, 0xe976ee23
	;; [unrolled: 1-line block ×4, first 2 shown]
	v_fma_f64 v[0:1], v[24:25], v[0:1], v[84:85]
	v_fma_f64 v[2:3], v[24:25], v[2:3], -v[26:27]
	v_fma_f64 v[24:25], v[16:17], v[60:61], v[86:87]
	v_fma_f64 v[16:17], v[16:17], v[62:63], -v[18:19]
	s_waitcnt lgkmcnt(0)
	v_mul_f64 v[18:19], v[38:39], v[82:83]
	v_mul_f64 v[26:27], v[38:39], v[80:81]
	;; [unrolled: 1-line block ×8, first 2 shown]
	v_fma_f64 v[18:19], v[36:37], v[80:81], v[18:19]
	v_fma_f64 v[26:27], v[36:37], v[82:83], -v[26:27]
	v_fma_f64 v[36:37], v[8:9], v[64:65], v[38:39]
	v_fma_f64 v[8:9], v[8:9], v[66:67], -v[10:11]
	;; [unrolled: 2-line block ×4, first 2 shown]
	v_add_f64 v[6:7], v[0:1], v[18:19]
	v_add_f64 v[42:43], v[2:3], v[26:27]
	v_add_f64 v[0:1], v[0:1], -v[18:19]
	v_add_f64 v[2:3], v[2:3], -v[26:27]
	v_add_f64 v[18:19], v[24:25], v[10:11]
	v_add_f64 v[26:27], v[16:17], v[38:39]
	v_add_f64 v[10:11], v[24:25], -v[10:11]
	v_add_f64 v[16:17], v[16:17], -v[38:39]
	;; [unrolled: 4-line block ×4, first 2 shown]
	v_add_f64 v[6:7], v[6:7], -v[24:25]
	v_add_f64 v[42:43], v[42:43], -v[38:39]
	;; [unrolled: 1-line block ×4, first 2 shown]
	v_add_f64 v[64:65], v[36:37], v[10:11]
	v_add_f64 v[66:67], v[4:5], v[16:17]
	v_add_f64 v[72:73], v[36:37], -v[10:11]
	v_add_f64 v[74:75], v[4:5], -v[16:17]
	v_add_f64 v[24:25], v[24:25], v[8:9]
	v_add_f64 v[38:39], v[38:39], v[40:41]
	v_add_f64 v[40:41], v[10:11], -v[0:1]
	v_add_f64 v[16:17], v[16:17], -v[2:3]
	v_mul_f64 v[6:7], v[6:7], s[4:5]
	v_mul_f64 v[42:43], v[42:43], s[4:5]
	s_mov_b32 s4, 0x36b3c0b5
	s_mov_b32 s5, 0x3fac98ee
	v_add_f64 v[36:37], v[0:1], -v[36:37]
	v_add_f64 v[4:5], v[2:3], -v[4:5]
	v_add_f64 v[0:1], v[64:65], v[0:1]
	v_add_f64 v[2:3], v[66:67], v[2:3]
	v_mul_f64 v[64:65], v[18:19], s[4:5]
	v_mul_f64 v[66:67], v[26:27], s[4:5]
	v_add_f64 v[8:9], v[68:69], v[24:25]
	v_add_f64 v[10:11], v[70:71], v[38:39]
	v_mul_f64 v[68:69], v[72:73], s[14:15]
	v_mul_f64 v[70:71], v[74:75], s[14:15]
	s_mov_b32 s14, 0x429ad128
	s_mov_b32 s15, 0xbfebfeb5
	v_mul_f64 v[72:73], v[40:41], s[14:15]
	v_mul_f64 v[74:75], v[16:17], s[14:15]
	v_fma_f64 v[18:19], v[18:19], s[4:5], v[6:7]
	v_fma_f64 v[26:27], v[26:27], s[4:5], v[42:43]
	s_mov_b32 s5, 0x3fe77f67
	s_mov_b32 s4, 0x5476071b
	v_fma_f64 v[64:65], v[60:61], s[4:5], -v[64:65]
	v_fma_f64 v[66:67], v[62:63], s[4:5], -v[66:67]
	s_mov_b32 s5, 0xbfe77f67
	s_mov_b32 s17, 0xbff2aaaa
	v_fma_f64 v[6:7], v[60:61], s[4:5], -v[6:7]
	v_fma_f64 v[42:43], v[62:63], s[4:5], -v[42:43]
	s_mov_b32 s5, 0xbfd5d0dc
	s_mov_b32 s4, 0xb247c609
	v_fma_f64 v[24:25], v[24:25], s[16:17], v[8:9]
	v_fma_f64 v[38:39], v[38:39], s[16:17], v[10:11]
	;; [unrolled: 1-line block ×4, first 2 shown]
	s_mov_b32 s5, 0x3fd5d0dc
	v_fma_f64 v[36:37], v[36:37], s[4:5], -v[72:73]
	v_fma_f64 v[4:5], v[4:5], s[4:5], -v[74:75]
	;; [unrolled: 1-line block ×4, first 2 shown]
	s_mov_b32 s4, 0x37c3f68c
	s_mov_b32 s5, 0xbfdc38aa
	v_add_f64 v[68:69], v[18:19], v[24:25]
	v_add_f64 v[70:71], v[26:27], v[38:39]
	v_fma_f64 v[62:63], v[2:3], s[4:5], v[62:63]
	v_fma_f64 v[60:61], v[0:1], s[4:5], v[60:61]
	v_add_f64 v[6:7], v[6:7], v[24:25]
	v_add_f64 v[72:73], v[42:43], v[38:39]
	v_fma_f64 v[4:5], v[2:3], s[4:5], v[4:5]
	v_fma_f64 v[74:75], v[0:1], s[4:5], v[36:37]
	;; [unrolled: 4-line block ×3, first 2 shown]
	v_add_f64 v[16:17], v[62:63], v[68:69]
	v_add_f64 v[18:19], v[70:71], -v[60:61]
	v_add_f64 v[24:25], v[4:5], v[6:7]
	v_add_f64 v[26:27], v[72:73], -v[74:75]
	s_waitcnt lgkmcnt(0)
	; wave barrier
	v_add_f64 v[36:37], v[64:65], -v[2:3]
	v_add_f64 v[38:39], v[0:1], v[66:67]
	v_add_f64 v[40:41], v[2:3], v[64:65]
	v_add_f64 v[42:43], v[66:67], -v[0:1]
	v_add_f64 v[0:1], v[6:7], -v[4:5]
	v_add_f64 v[2:3], v[74:75], v[72:73]
	v_add_f64 v[4:5], v[68:69], -v[62:63]
	v_add_f64 v[6:7], v[60:61], v[70:71]
	ds_write_b128 v216, v[8:11]
	ds_write_b128 v216, v[16:19] offset:176
	ds_write_b128 v216, v[24:27] offset:352
	ds_write_b128 v216, v[36:39] offset:528
	ds_write_b128 v216, v[40:43] offset:704
	ds_write_b128 v216, v[0:3] offset:880
	ds_write_b128 v216, v[4:7] offset:1056
	s_waitcnt lgkmcnt(0)
	; wave barrier
	s_waitcnt lgkmcnt(0)
	ds_read_b128 v[8:11], v213
	ds_read_b128 v[40:43], v213 offset:1232
	ds_read_b128 v[16:19], v213 offset:2464
	;; [unrolled: 1-line block ×4, first 2 shown]
	s_and_saveexec_b64 s[4:5], s[2:3]
	s_cbranch_execz .LBB0_19
; %bb.18:
	ds_read_b128 v[0:3], v213 offset:880
	ds_read_b128 v[4:7], v213 offset:2112
	;; [unrolled: 1-line block ×5, first 2 shown]
.LBB0_19:
	s_or_b64 exec, exec, s[4:5]
	s_waitcnt lgkmcnt(2)
	v_mul_f64 v[60:61], v[54:55], v[18:19]
	s_waitcnt lgkmcnt(1)
	v_mul_f64 v[62:63], v[50:51], v[26:27]
	v_mul_f64 v[64:65], v[58:59], v[42:43]
	;; [unrolled: 1-line block ×4, first 2 shown]
	s_waitcnt lgkmcnt(0)
	v_mul_f64 v[66:67], v[46:47], v[36:37]
	s_mov_b32 s4, 0x134454ff
	s_mov_b32 s5, 0xbfee6f0e
	v_fma_f64 v[60:61], v[52:53], v[16:17], v[60:61]
	v_fma_f64 v[62:63], v[48:49], v[24:25], v[62:63]
	v_mul_f64 v[16:17], v[50:51], v[24:25]
	v_mul_f64 v[24:25], v[46:47], v[38:39]
	v_fma_f64 v[40:41], v[56:57], v[40:41], v[64:65]
	v_fma_f64 v[42:43], v[56:57], v[42:43], -v[58:59]
	v_fma_f64 v[38:39], v[44:45], v[38:39], -v[66:67]
	;; [unrolled: 1-line block ×3, first 2 shown]
	s_mov_b32 s19, 0x3fee6f0e
	v_add_f64 v[46:47], v[60:61], v[62:63]
	v_fma_f64 v[26:27], v[48:49], v[26:27], -v[16:17]
	v_fma_f64 v[24:25], v[44:45], v[36:37], v[24:25]
	v_add_f64 v[16:17], v[8:9], v[40:41]
	v_add_f64 v[48:49], v[40:41], -v[60:61]
	v_add_f64 v[36:37], v[42:43], -v[38:39]
	s_mov_b32 s18, s4
	v_add_f64 v[64:65], v[42:43], v[38:39]
	v_fma_f64 v[44:45], v[46:47], -0.5, v[8:9]
	v_add_f64 v[46:47], v[18:19], -v[26:27]
	v_add_f64 v[50:51], v[24:25], -v[62:63]
	v_add_f64 v[52:53], v[40:41], v[24:25]
	v_add_f64 v[16:17], v[16:17], v[60:61]
	s_mov_b32 s14, 0x4755a5e
	s_mov_b32 s15, 0xbfe2cf23
	v_add_f64 v[58:59], v[10:11], v[42:43]
	v_fma_f64 v[54:55], v[36:37], s[4:5], v[44:45]
	v_fma_f64 v[44:45], v[36:37], s[18:19], v[44:45]
	v_add_f64 v[48:49], v[48:49], v[50:51]
	v_fma_f64 v[50:51], v[52:53], -0.5, v[8:9]
	v_add_f64 v[8:9], v[16:17], v[62:63]
	v_add_f64 v[52:53], v[18:19], v[26:27]
	s_mov_b32 s21, 0x3fe2cf23
	s_mov_b32 s20, s14
	v_add_f64 v[56:57], v[60:61], -v[40:41]
	v_fma_f64 v[16:17], v[46:47], s[14:15], v[54:55]
	v_add_f64 v[54:55], v[62:63], -v[24:25]
	v_fma_f64 v[66:67], v[46:47], s[18:19], v[50:51]
	v_add_f64 v[8:9], v[8:9], v[24:25]
	v_fma_f64 v[52:53], v[52:53], -0.5, v[10:11]
	v_add_f64 v[24:25], v[40:41], -v[24:25]
	v_fma_f64 v[40:41], v[46:47], s[20:21], v[44:45]
	v_add_f64 v[44:45], v[60:61], -v[62:63]
	v_fma_f64 v[10:11], v[64:65], -0.5, v[10:11]
	v_fma_f64 v[46:47], v[46:47], s[4:5], v[50:51]
	v_add_f64 v[50:51], v[58:59], v[18:19]
	v_add_f64 v[54:55], v[56:57], v[54:55]
	v_add_f64 v[58:59], v[42:43], -v[18:19]
	v_fma_f64 v[56:57], v[24:25], s[18:19], v[52:53]
	v_add_f64 v[62:63], v[38:39], -v[26:27]
	v_add_f64 v[18:19], v[18:19], -v[42:43]
	v_fma_f64 v[64:65], v[44:45], s[4:5], v[10:11]
	v_add_f64 v[42:43], v[26:27], -v[38:39]
	v_fma_f64 v[10:11], v[44:45], s[18:19], v[10:11]
	v_fma_f64 v[52:53], v[24:25], s[4:5], v[52:53]
	v_add_f64 v[26:27], v[50:51], v[26:27]
	v_fma_f64 v[50:51], v[44:45], s[20:21], v[56:57]
	v_add_f64 v[56:57], v[58:59], v[62:63]
	v_fma_f64 v[60:61], v[36:37], s[14:15], v[66:67]
	v_fma_f64 v[58:59], v[24:25], s[20:21], v[64:65]
	v_add_f64 v[42:43], v[18:19], v[42:43]
	v_fma_f64 v[46:47], v[36:37], s[20:21], v[46:47]
	v_fma_f64 v[62:63], v[24:25], s[14:15], v[10:11]
	;; [unrolled: 1-line block ×3, first 2 shown]
	s_mov_b32 s16, 0x372fe950
	s_mov_b32 s17, 0x3fd3c6ef
	v_add_f64 v[10:11], v[26:27], v[38:39]
	v_fma_f64 v[16:17], v[48:49], s[16:17], v[16:17]
	v_fma_f64 v[18:19], v[56:57], s[16:17], v[50:51]
	;; [unrolled: 1-line block ×8, first 2 shown]
	ds_write_b128 v213, v[8:11]
	ds_write_b128 v213, v[16:19] offset:1232
	ds_write_b128 v213, v[36:39] offset:2464
	;; [unrolled: 1-line block ×4, first 2 shown]
	s_and_saveexec_b64 s[22:23], s[2:3]
	s_cbranch_execz .LBB0_21
; %bb.20:
	v_mul_f64 v[10:11], v[14:15], v[4:5]
	v_mul_f64 v[16:17], v[231:232], v[108:109]
	;; [unrolled: 1-line block ×8, first 2 shown]
	v_fma_f64 v[6:7], v[12:13], v[6:7], -v[10:11]
	v_fma_f64 v[16:17], v[229:230], v[110:111], -v[16:17]
	v_fma_f64 v[8:9], v[32:33], v[102:103], -v[8:9]
	v_fma_f64 v[10:11], v[28:29], v[106:107], -v[18:19]
	v_fma_f64 v[18:19], v[32:33], v[100:101], v[24:25]
	v_fma_f64 v[24:25], v[28:29], v[104:105], v[26:27]
	;; [unrolled: 1-line block ×4, first 2 shown]
	v_add_f64 v[36:37], v[2:3], v[6:7]
	v_add_f64 v[14:15], v[6:7], v[16:17]
	v_add_f64 v[20:21], v[8:9], -v[6:7]
	v_add_f64 v[30:31], v[8:9], v[10:11]
	v_add_f64 v[22:23], v[10:11], -v[16:17]
	v_add_f64 v[26:27], v[18:19], -v[24:25]
	;; [unrolled: 1-line block ×5, first 2 shown]
	v_fma_f64 v[14:15], v[14:15], -0.5, v[2:3]
	v_add_f64 v[42:43], v[6:7], -v[16:17]
	v_fma_f64 v[2:3], v[30:31], -0.5, v[2:3]
	v_add_f64 v[6:7], v[4:5], v[12:13]
	v_add_f64 v[46:47], v[18:19], v[24:25]
	;; [unrolled: 1-line block ×4, first 2 shown]
	v_add_f64 v[44:45], v[8:9], -v[10:11]
	v_fma_f64 v[30:31], v[26:27], s[18:19], v[14:15]
	v_fma_f64 v[14:15], v[26:27], s[4:5], v[14:15]
	;; [unrolled: 1-line block ×4, first 2 shown]
	v_add_f64 v[38:39], v[18:19], -v[4:5]
	v_add_f64 v[8:9], v[36:37], v[8:9]
	v_add_f64 v[4:5], v[4:5], -v[18:19]
	v_add_f64 v[18:19], v[48:49], v[18:19]
	v_fma_f64 v[30:31], v[28:29], s[14:15], v[30:31]
	v_fma_f64 v[14:15], v[28:29], s[20:21], v[14:15]
	v_add_f64 v[28:29], v[32:33], v[34:35]
	v_fma_f64 v[32:33], v[6:7], -0.5, v[0:1]
	v_fma_f64 v[0:1], v[46:47], -0.5, v[0:1]
	v_fma_f64 v[22:23], v[26:27], s[14:15], v[22:23]
	v_fma_f64 v[26:27], v[26:27], s[20:21], v[2:3]
	v_add_f64 v[40:41], v[24:25], -v[12:13]
	v_fma_f64 v[2:3], v[20:21], s[16:17], v[30:31]
	v_fma_f64 v[6:7], v[20:21], s[16:17], v[14:15]
	v_add_f64 v[14:15], v[12:13], -v[24:25]
	v_fma_f64 v[30:31], v[44:45], s[18:19], v[32:33]
	v_fma_f64 v[20:21], v[42:43], s[4:5], v[0:1]
	;; [unrolled: 1-line block ×4, first 2 shown]
	v_add_f64 v[8:9], v[8:9], v[10:11]
	v_add_f64 v[34:35], v[38:39], v[40:41]
	v_fma_f64 v[10:11], v[28:29], s[16:17], v[22:23]
	v_add_f64 v[36:37], v[4:5], v[14:15]
	v_add_f64 v[4:5], v[18:19], v[24:25]
	v_fma_f64 v[20:21], v[44:45], s[14:15], v[20:21]
	v_fma_f64 v[24:25], v[42:43], s[14:15], v[30:31]
	;; [unrolled: 1-line block ×4, first 2 shown]
	v_add_f64 v[18:19], v[8:9], v[16:17]
	v_fma_f64 v[14:15], v[28:29], s[16:17], v[26:27]
	v_add_f64 v[16:17], v[4:5], v[12:13]
	v_fma_f64 v[12:13], v[36:37], s[16:17], v[20:21]
	v_fma_f64 v[4:5], v[34:35], s[16:17], v[24:25]
	;; [unrolled: 1-line block ×4, first 2 shown]
	ds_write_b128 v213, v[16:19] offset:880
	ds_write_b128 v213, v[12:15] offset:2112
	;; [unrolled: 1-line block ×5, first 2 shown]
.LBB0_21:
	s_or_b64 exec, exec, s[22:23]
	s_waitcnt lgkmcnt(0)
	; wave barrier
	s_waitcnt lgkmcnt(0)
	s_and_b64 exec, exec, s[0:1]
	s_cbranch_execz .LBB0_23
; %bb.22:
	global_load_dwordx4 v[0:3], v213, s[12:13]
	global_load_dwordx4 v[4:7], v213, s[12:13] offset:560
	global_load_dwordx4 v[8:11], v213, s[12:13] offset:1120
	;; [unrolled: 1-line block ×4, first 2 shown]
	ds_read_b128 v[20:23], v213
	ds_read_b128 v[24:27], v213 offset:560
	ds_read_b128 v[28:31], v213 offset:1120
	;; [unrolled: 1-line block ×3, first 2 shown]
	global_load_dwordx4 v[36:39], v213, s[12:13] offset:2800
	ds_read_b128 v[40:43], v213 offset:2240
	ds_read_b128 v[44:47], v213 offset:2800
	global_load_dwordx4 v[48:51], v213, s[12:13] offset:3360
	global_load_dwordx4 v[52:55], v213, s[12:13] offset:3920
	v_mad_u64_u32 v[72:73], s[0:1], s10, v214, 0
	v_mad_u64_u32 v[74:75], s[2:3], s8, v112, 0
	v_mov_b32_e32 v60, s13
	v_add_co_u32_e32 v61, vcc, s12, v213
	s_movk_i32 s5, 0x1000
	v_addc_co_u32_e32 v60, vcc, 0, v60, vcc
	v_add_co_u32_e32 v76, vcc, s5, v61
	s_mul_i32 s3, s9, 0x230
	s_mul_hi_u32 s4, s8, 0x230
	v_addc_co_u32_e32 v77, vcc, 0, v60, vcc
	v_mov_b32_e32 v60, v73
	v_mov_b32_e32 v61, v75
	s_add_i32 s3, s4, s3
	v_mad_u64_u32 v[78:79], s[4:5], s11, v214, v[60:61]
	ds_read_b128 v[56:59], v213 offset:5600
	v_mad_u64_u32 v[79:80], s[4:5], s9, v112, v[61:62]
	global_load_dwordx4 v[60:63], v[76:77], off offset:384
	global_load_dwordx4 v[64:67], v[76:77], off offset:944
	;; [unrolled: 1-line block ×3, first 2 shown]
	v_mov_b32_e32 v73, v78
	v_lshlrev_b64 v[72:73], 4, v[72:73]
	v_mov_b32_e32 v75, v79
	v_mov_b32_e32 v81, s7
	v_lshlrev_b64 v[74:75], 4, v[74:75]
	v_add_co_u32_e32 v72, vcc, s6, v72
	v_addc_co_u32_e32 v73, vcc, v81, v73, vcc
	v_add_co_u32_e32 v72, vcc, v72, v74
	s_mul_i32 s2, s8, 0x230
	v_addc_co_u32_e32 v73, vcc, v73, v75, vcc
	v_mov_b32_e32 v82, s3
	v_add_co_u32_e32 v74, vcc, s2, v72
	v_addc_co_u32_e32 v75, vcc, v73, v82, vcc
	v_mov_b32_e32 v83, s3
	v_add_co_u32_e32 v76, vcc, s2, v74
	;; [unrolled: 3-line block ×3, first 2 shown]
	v_addc_co_u32_e32 v79, vcc, v77, v84, vcc
	s_mov_b32 s0, 0xe6bb82fe
	s_mov_b32 s1, 0x3f654725
	s_waitcnt vmcnt(10) lgkmcnt(6)
	v_mul_f64 v[80:81], v[22:23], v[2:3]
	v_mul_f64 v[2:3], v[20:21], v[2:3]
	s_waitcnt vmcnt(9) lgkmcnt(5)
	v_mul_f64 v[82:83], v[26:27], v[6:7]
	v_mul_f64 v[6:7], v[24:25], v[6:7]
	;; [unrolled: 3-line block ×4, first 2 shown]
	v_fma_f64 v[20:21], v[20:21], v[0:1], v[80:81]
	v_fma_f64 v[2:3], v[0:1], v[22:23], -v[2:3]
	v_fma_f64 v[22:23], v[24:25], v[4:5], v[82:83]
	v_fma_f64 v[6:7], v[4:5], v[26:27], -v[6:7]
	;; [unrolled: 2-line block ×4, first 2 shown]
	s_waitcnt vmcnt(6) lgkmcnt(2)
	v_mul_f64 v[88:89], v[42:43], v[18:19]
	v_mul_f64 v[18:19], v[40:41], v[18:19]
	;; [unrolled: 1-line block ×10, first 2 shown]
	v_fma_f64 v[20:21], v[40:41], v[16:17], v[88:89]
	v_fma_f64 v[16:17], v[16:17], v[42:43], -v[18:19]
	s_waitcnt vmcnt(5) lgkmcnt(1)
	v_mul_f64 v[18:19], v[46:47], v[38:39]
	v_mul_f64 v[22:23], v[44:45], v[38:39]
	global_store_dwordx4 v[72:73], v[0:3], off
	global_store_dwordx4 v[74:75], v[4:7], off
	;; [unrolled: 1-line block ×4, first 2 shown]
	ds_read_b128 v[4:7], v213 offset:3360
	ds_read_b128 v[8:11], v213 offset:3920
	v_mul_f64 v[0:1], v[20:21], s[0:1]
	v_mul_f64 v[2:3], v[16:17], s[0:1]
	v_fma_f64 v[12:13], v[44:45], v[36:37], v[18:19]
	v_fma_f64 v[14:15], v[36:37], v[46:47], -v[22:23]
	s_waitcnt vmcnt(8) lgkmcnt(1)
	v_mul_f64 v[16:17], v[6:7], v[50:51]
	v_mul_f64 v[18:19], v[4:5], v[50:51]
	v_mov_b32_e32 v21, s3
	v_add_co_u32_e32 v20, vcc, s2, v78
	v_addc_co_u32_e32 v21, vcc, v79, v21, vcc
	global_store_dwordx4 v[20:21], v[0:3], off
	v_fma_f64 v[4:5], v[4:5], v[48:49], v[16:17]
	v_mul_f64 v[0:1], v[12:13], s[0:1]
	v_mul_f64 v[2:3], v[14:15], s[0:1]
	v_fma_f64 v[6:7], v[48:49], v[6:7], -v[18:19]
	s_waitcnt vmcnt(8) lgkmcnt(0)
	v_mul_f64 v[12:13], v[10:11], v[54:55]
	v_mul_f64 v[14:15], v[8:9], v[54:55]
	v_mov_b32_e32 v22, s3
	v_add_co_u32_e32 v16, vcc, s2, v20
	v_addc_co_u32_e32 v17, vcc, v21, v22, vcc
	global_store_dwordx4 v[16:17], v[0:3], off
	v_fma_f64 v[12:13], v[8:9], v[52:53], v[12:13]
	v_mul_f64 v[0:1], v[4:5], s[0:1]
	v_mul_f64 v[2:3], v[6:7], s[0:1]
	ds_read_b128 v[4:7], v213 offset:4480
	v_fma_f64 v[14:15], v[52:53], v[10:11], -v[14:15]
	ds_read_b128 v[8:11], v213 offset:5040
	v_add_co_u32_e32 v16, vcc, s2, v16
	s_waitcnt vmcnt(8) lgkmcnt(1)
	v_mul_f64 v[18:19], v[6:7], v[62:63]
	v_mul_f64 v[20:21], v[4:5], v[62:63]
	v_addc_co_u32_e32 v17, vcc, v17, v22, vcc
	global_store_dwordx4 v[16:17], v[0:3], off
	v_fma_f64 v[4:5], v[4:5], v[60:61], v[18:19]
	v_mul_f64 v[0:1], v[12:13], s[0:1]
	v_mov_b32_e32 v13, s3
	v_add_co_u32_e32 v12, vcc, s2, v16
	v_mul_f64 v[2:3], v[14:15], s[0:1]
	v_fma_f64 v[6:7], v[60:61], v[6:7], -v[20:21]
	v_addc_co_u32_e32 v13, vcc, v17, v13, vcc
	s_waitcnt vmcnt(8) lgkmcnt(0)
	v_mul_f64 v[14:15], v[10:11], v[66:67]
	v_mul_f64 v[16:17], v[8:9], v[66:67]
	s_waitcnt vmcnt(7)
	v_mul_f64 v[18:19], v[58:59], v[70:71]
	v_mul_f64 v[20:21], v[56:57], v[70:71]
	global_store_dwordx4 v[12:13], v[0:3], off
	v_add_co_u32_e32 v12, vcc, s2, v12
	v_mul_f64 v[0:1], v[4:5], s[0:1]
	v_mul_f64 v[2:3], v[6:7], s[0:1]
	v_fma_f64 v[4:5], v[8:9], v[64:65], v[14:15]
	v_fma_f64 v[6:7], v[64:65], v[10:11], -v[16:17]
	v_fma_f64 v[8:9], v[56:57], v[68:69], v[18:19]
	v_fma_f64 v[10:11], v[68:69], v[58:59], -v[20:21]
	v_addc_co_u32_e32 v13, vcc, v13, v22, vcc
	v_mov_b32_e32 v14, s3
	global_store_dwordx4 v[12:13], v[0:3], off
	s_nop 0
	v_mul_f64 v[0:1], v[4:5], s[0:1]
	v_mul_f64 v[2:3], v[6:7], s[0:1]
	;; [unrolled: 1-line block ×4, first 2 shown]
	v_add_co_u32_e32 v8, vcc, s2, v12
	v_addc_co_u32_e32 v9, vcc, v13, v14, vcc
	global_store_dwordx4 v[8:9], v[0:3], off
	s_nop 0
	v_mov_b32_e32 v1, s3
	v_add_co_u32_e32 v0, vcc, s2, v8
	v_addc_co_u32_e32 v1, vcc, v9, v1, vcc
	global_store_dwordx4 v[0:1], v[4:7], off
.LBB0_23:
	s_endpgm
	.section	.rodata,"a",@progbits
	.p2align	6, 0x0
	.amdhsa_kernel bluestein_single_fwd_len385_dim1_dp_op_CI_CI
		.amdhsa_group_segment_fixed_size 6160
		.amdhsa_private_segment_fixed_size 212
		.amdhsa_kernarg_size 104
		.amdhsa_user_sgpr_count 6
		.amdhsa_user_sgpr_private_segment_buffer 1
		.amdhsa_user_sgpr_dispatch_ptr 0
		.amdhsa_user_sgpr_queue_ptr 0
		.amdhsa_user_sgpr_kernarg_segment_ptr 1
		.amdhsa_user_sgpr_dispatch_id 0
		.amdhsa_user_sgpr_flat_scratch_init 0
		.amdhsa_user_sgpr_private_segment_size 0
		.amdhsa_uses_dynamic_stack 0
		.amdhsa_system_sgpr_private_segment_wavefront_offset 1
		.amdhsa_system_sgpr_workgroup_id_x 1
		.amdhsa_system_sgpr_workgroup_id_y 0
		.amdhsa_system_sgpr_workgroup_id_z 0
		.amdhsa_system_sgpr_workgroup_info 0
		.amdhsa_system_vgpr_workitem_id 0
		.amdhsa_next_free_vgpr 256
		.amdhsa_next_free_sgpr 48
		.amdhsa_reserve_vcc 1
		.amdhsa_reserve_flat_scratch 0
		.amdhsa_float_round_mode_32 0
		.amdhsa_float_round_mode_16_64 0
		.amdhsa_float_denorm_mode_32 3
		.amdhsa_float_denorm_mode_16_64 3
		.amdhsa_dx10_clamp 1
		.amdhsa_ieee_mode 1
		.amdhsa_fp16_overflow 0
		.amdhsa_exception_fp_ieee_invalid_op 0
		.amdhsa_exception_fp_denorm_src 0
		.amdhsa_exception_fp_ieee_div_zero 0
		.amdhsa_exception_fp_ieee_overflow 0
		.amdhsa_exception_fp_ieee_underflow 0
		.amdhsa_exception_fp_ieee_inexact 0
		.amdhsa_exception_int_div_zero 0
	.end_amdhsa_kernel
	.text
.Lfunc_end0:
	.size	bluestein_single_fwd_len385_dim1_dp_op_CI_CI, .Lfunc_end0-bluestein_single_fwd_len385_dim1_dp_op_CI_CI
                                        ; -- End function
	.section	.AMDGPU.csdata,"",@progbits
; Kernel info:
; codeLenInByte = 15504
; NumSgprs: 52
; NumVgprs: 256
; ScratchSize: 212
; MemoryBound: 0
; FloatMode: 240
; IeeeMode: 1
; LDSByteSize: 6160 bytes/workgroup (compile time only)
; SGPRBlocks: 6
; VGPRBlocks: 63
; NumSGPRsForWavesPerEU: 52
; NumVGPRsForWavesPerEU: 256
; Occupancy: 1
; WaveLimiterHint : 1
; COMPUTE_PGM_RSRC2:SCRATCH_EN: 1
; COMPUTE_PGM_RSRC2:USER_SGPR: 6
; COMPUTE_PGM_RSRC2:TRAP_HANDLER: 0
; COMPUTE_PGM_RSRC2:TGID_X_EN: 1
; COMPUTE_PGM_RSRC2:TGID_Y_EN: 0
; COMPUTE_PGM_RSRC2:TGID_Z_EN: 0
; COMPUTE_PGM_RSRC2:TIDIG_COMP_CNT: 0
	.type	__hip_cuid_ac99306e334e748e,@object ; @__hip_cuid_ac99306e334e748e
	.section	.bss,"aw",@nobits
	.globl	__hip_cuid_ac99306e334e748e
__hip_cuid_ac99306e334e748e:
	.byte	0                               ; 0x0
	.size	__hip_cuid_ac99306e334e748e, 1

	.ident	"AMD clang version 19.0.0git (https://github.com/RadeonOpenCompute/llvm-project roc-6.4.0 25133 c7fe45cf4b819c5991fe208aaa96edf142730f1d)"
	.section	".note.GNU-stack","",@progbits
	.addrsig
	.addrsig_sym __hip_cuid_ac99306e334e748e
	.amdgpu_metadata
---
amdhsa.kernels:
  - .args:
      - .actual_access:  read_only
        .address_space:  global
        .offset:         0
        .size:           8
        .value_kind:     global_buffer
      - .actual_access:  read_only
        .address_space:  global
        .offset:         8
        .size:           8
        .value_kind:     global_buffer
      - .actual_access:  read_only
        .address_space:  global
        .offset:         16
        .size:           8
        .value_kind:     global_buffer
      - .actual_access:  read_only
        .address_space:  global
        .offset:         24
        .size:           8
        .value_kind:     global_buffer
      - .actual_access:  read_only
        .address_space:  global
        .offset:         32
        .size:           8
        .value_kind:     global_buffer
      - .offset:         40
        .size:           8
        .value_kind:     by_value
      - .address_space:  global
        .offset:         48
        .size:           8
        .value_kind:     global_buffer
      - .address_space:  global
        .offset:         56
        .size:           8
        .value_kind:     global_buffer
      - .address_space:  global
        .offset:         64
        .size:           8
        .value_kind:     global_buffer
      - .address_space:  global
        .offset:         72
        .size:           8
        .value_kind:     global_buffer
      - .offset:         80
        .size:           4
        .value_kind:     by_value
      - .address_space:  global
        .offset:         88
        .size:           8
        .value_kind:     global_buffer
      - .address_space:  global
        .offset:         96
        .size:           8
        .value_kind:     global_buffer
    .group_segment_fixed_size: 6160
    .kernarg_segment_align: 8
    .kernarg_segment_size: 104
    .language:       OpenCL C
    .language_version:
      - 2
      - 0
    .max_flat_workgroup_size: 55
    .name:           bluestein_single_fwd_len385_dim1_dp_op_CI_CI
    .private_segment_fixed_size: 212
    .sgpr_count:     52
    .sgpr_spill_count: 0
    .symbol:         bluestein_single_fwd_len385_dim1_dp_op_CI_CI.kd
    .uniform_work_group_size: 1
    .uses_dynamic_stack: false
    .vgpr_count:     256
    .vgpr_spill_count: 52
    .wavefront_size: 64
amdhsa.target:   amdgcn-amd-amdhsa--gfx906
amdhsa.version:
  - 1
  - 2
...

	.end_amdgpu_metadata
